;; amdgpu-corpus repo=ROCm/rocFFT kind=compiled arch=gfx1030 opt=O3
	.text
	.amdgcn_target "amdgcn-amd-amdhsa--gfx1030"
	.amdhsa_code_object_version 6
	.protected	fft_rtc_fwd_len975_factors_13_5_3_5_wgs_117_tpt_39_halfLds_sp_ip_CI_sbrr_dirReg ; -- Begin function fft_rtc_fwd_len975_factors_13_5_3_5_wgs_117_tpt_39_halfLds_sp_ip_CI_sbrr_dirReg
	.globl	fft_rtc_fwd_len975_factors_13_5_3_5_wgs_117_tpt_39_halfLds_sp_ip_CI_sbrr_dirReg
	.p2align	8
	.type	fft_rtc_fwd_len975_factors_13_5_3_5_wgs_117_tpt_39_halfLds_sp_ip_CI_sbrr_dirReg,@function
fft_rtc_fwd_len975_factors_13_5_3_5_wgs_117_tpt_39_halfLds_sp_ip_CI_sbrr_dirReg: ; @fft_rtc_fwd_len975_factors_13_5_3_5_wgs_117_tpt_39_halfLds_sp_ip_CI_sbrr_dirReg
; %bb.0:
	s_clause 0x1
	s_load_dwordx2 s[14:15], s[4:5], 0x18
	s_load_dwordx4 s[8:11], s[4:5], 0x0
	v_mul_u32_u24_e32 v1, 0x691, v0
	v_mov_b32_e32 v3, 0
	s_load_dwordx2 s[12:13], s[4:5], 0x50
	s_waitcnt lgkmcnt(0)
	s_load_dwordx2 s[2:3], s[14:15], 0x0
	v_lshrrev_b32_e32 v1, 16, v1
	v_cmp_lt_u64_e64 s0, s[10:11], 2
	v_mad_u64_u32 v[54:55], null, s6, 3, v[1:2]
	v_mov_b32_e32 v55, v3
	v_mov_b32_e32 v1, 0
	;; [unrolled: 1-line block ×3, first 2 shown]
	s_and_b32 vcc_lo, exec_lo, s0
	v_mov_b32_e32 v7, v54
	v_mov_b32_e32 v8, v55
	s_cbranch_vccnz .LBB0_8
; %bb.1:
	s_load_dwordx2 s[0:1], s[4:5], 0x10
	v_mov_b32_e32 v1, 0
	v_mov_b32_e32 v5, v54
	s_add_u32 s6, s14, 8
	v_mov_b32_e32 v2, 0
	v_mov_b32_e32 v6, v55
	s_addc_u32 s7, s15, 0
	s_mov_b64 s[18:19], 1
	s_waitcnt lgkmcnt(0)
	s_add_u32 s16, s0, 8
	s_addc_u32 s17, s1, 0
.LBB0_2:                                ; =>This Inner Loop Header: Depth=1
	s_load_dwordx2 s[20:21], s[16:17], 0x0
                                        ; implicit-def: $vgpr7_vgpr8
	s_mov_b32 s0, exec_lo
	s_waitcnt lgkmcnt(0)
	v_or_b32_e32 v4, s21, v6
	v_cmpx_ne_u64_e32 0, v[3:4]
	s_xor_b32 s1, exec_lo, s0
	s_cbranch_execz .LBB0_4
; %bb.3:                                ;   in Loop: Header=BB0_2 Depth=1
	v_cvt_f32_u32_e32 v4, s20
	v_cvt_f32_u32_e32 v7, s21
	s_sub_u32 s0, 0, s20
	s_subb_u32 s22, 0, s21
	v_fmac_f32_e32 v4, 0x4f800000, v7
	v_rcp_f32_e32 v4, v4
	v_mul_f32_e32 v4, 0x5f7ffffc, v4
	v_mul_f32_e32 v7, 0x2f800000, v4
	v_trunc_f32_e32 v7, v7
	v_fmac_f32_e32 v4, 0xcf800000, v7
	v_cvt_u32_f32_e32 v7, v7
	v_cvt_u32_f32_e32 v4, v4
	v_mul_lo_u32 v8, s0, v7
	v_mul_hi_u32 v9, s0, v4
	v_mul_lo_u32 v10, s22, v4
	v_add_nc_u32_e32 v8, v9, v8
	v_mul_lo_u32 v9, s0, v4
	v_add_nc_u32_e32 v8, v8, v10
	v_mul_hi_u32 v10, v4, v9
	v_mul_lo_u32 v11, v4, v8
	v_mul_hi_u32 v12, v4, v8
	v_mul_hi_u32 v13, v7, v9
	v_mul_lo_u32 v9, v7, v9
	v_mul_hi_u32 v14, v7, v8
	v_mul_lo_u32 v8, v7, v8
	v_add_co_u32 v10, vcc_lo, v10, v11
	v_add_co_ci_u32_e32 v11, vcc_lo, 0, v12, vcc_lo
	v_add_co_u32 v9, vcc_lo, v10, v9
	v_add_co_ci_u32_e32 v9, vcc_lo, v11, v13, vcc_lo
	v_add_co_ci_u32_e32 v10, vcc_lo, 0, v14, vcc_lo
	v_add_co_u32 v8, vcc_lo, v9, v8
	v_add_co_ci_u32_e32 v9, vcc_lo, 0, v10, vcc_lo
	v_add_co_u32 v4, vcc_lo, v4, v8
	v_add_co_ci_u32_e32 v7, vcc_lo, v7, v9, vcc_lo
	v_mul_hi_u32 v8, s0, v4
	v_mul_lo_u32 v10, s22, v4
	v_mul_lo_u32 v9, s0, v7
	v_add_nc_u32_e32 v8, v8, v9
	v_mul_lo_u32 v9, s0, v4
	v_add_nc_u32_e32 v8, v8, v10
	v_mul_hi_u32 v10, v4, v9
	v_mul_lo_u32 v11, v4, v8
	v_mul_hi_u32 v12, v4, v8
	v_mul_hi_u32 v13, v7, v9
	v_mul_lo_u32 v9, v7, v9
	v_mul_hi_u32 v14, v7, v8
	v_mul_lo_u32 v8, v7, v8
	v_add_co_u32 v10, vcc_lo, v10, v11
	v_add_co_ci_u32_e32 v11, vcc_lo, 0, v12, vcc_lo
	v_add_co_u32 v9, vcc_lo, v10, v9
	v_add_co_ci_u32_e32 v9, vcc_lo, v11, v13, vcc_lo
	v_add_co_ci_u32_e32 v10, vcc_lo, 0, v14, vcc_lo
	v_add_co_u32 v8, vcc_lo, v9, v8
	v_add_co_ci_u32_e32 v9, vcc_lo, 0, v10, vcc_lo
	v_add_co_u32 v4, vcc_lo, v4, v8
	v_add_co_ci_u32_e32 v11, vcc_lo, v7, v9, vcc_lo
	v_mul_hi_u32 v13, v5, v4
	v_mad_u64_u32 v[9:10], null, v6, v4, 0
	v_mad_u64_u32 v[7:8], null, v5, v11, 0
	v_mad_u64_u32 v[11:12], null, v6, v11, 0
	v_add_co_u32 v4, vcc_lo, v13, v7
	v_add_co_ci_u32_e32 v7, vcc_lo, 0, v8, vcc_lo
	v_add_co_u32 v4, vcc_lo, v4, v9
	v_add_co_ci_u32_e32 v4, vcc_lo, v7, v10, vcc_lo
	v_add_co_ci_u32_e32 v7, vcc_lo, 0, v12, vcc_lo
	v_add_co_u32 v4, vcc_lo, v4, v11
	v_add_co_ci_u32_e32 v9, vcc_lo, 0, v7, vcc_lo
	v_mul_lo_u32 v10, s21, v4
	v_mad_u64_u32 v[7:8], null, s20, v4, 0
	v_mul_lo_u32 v11, s20, v9
	v_sub_co_u32 v7, vcc_lo, v5, v7
	v_add3_u32 v8, v8, v11, v10
	v_sub_nc_u32_e32 v10, v6, v8
	v_subrev_co_ci_u32_e64 v10, s0, s21, v10, vcc_lo
	v_add_co_u32 v11, s0, v4, 2
	v_add_co_ci_u32_e64 v12, s0, 0, v9, s0
	v_sub_co_u32 v13, s0, v7, s20
	v_sub_co_ci_u32_e32 v8, vcc_lo, v6, v8, vcc_lo
	v_subrev_co_ci_u32_e64 v10, s0, 0, v10, s0
	v_cmp_le_u32_e32 vcc_lo, s20, v13
	v_cmp_eq_u32_e64 s0, s21, v8
	v_cndmask_b32_e64 v13, 0, -1, vcc_lo
	v_cmp_le_u32_e32 vcc_lo, s21, v10
	v_cndmask_b32_e64 v14, 0, -1, vcc_lo
	v_cmp_le_u32_e32 vcc_lo, s20, v7
	;; [unrolled: 2-line block ×3, first 2 shown]
	v_cndmask_b32_e64 v15, 0, -1, vcc_lo
	v_cmp_eq_u32_e32 vcc_lo, s21, v10
	v_cndmask_b32_e64 v7, v15, v7, s0
	v_cndmask_b32_e32 v10, v14, v13, vcc_lo
	v_add_co_u32 v13, vcc_lo, v4, 1
	v_add_co_ci_u32_e32 v14, vcc_lo, 0, v9, vcc_lo
	v_cmp_ne_u32_e32 vcc_lo, 0, v10
	v_cndmask_b32_e32 v8, v14, v12, vcc_lo
	v_cndmask_b32_e32 v10, v13, v11, vcc_lo
	v_cmp_ne_u32_e32 vcc_lo, 0, v7
	v_cndmask_b32_e32 v8, v9, v8, vcc_lo
	v_cndmask_b32_e32 v7, v4, v10, vcc_lo
.LBB0_4:                                ;   in Loop: Header=BB0_2 Depth=1
	s_andn2_saveexec_b32 s0, s1
	s_cbranch_execz .LBB0_6
; %bb.5:                                ;   in Loop: Header=BB0_2 Depth=1
	v_cvt_f32_u32_e32 v4, s20
	s_sub_i32 s1, 0, s20
	v_rcp_iflag_f32_e32 v4, v4
	v_mul_f32_e32 v4, 0x4f7ffffe, v4
	v_cvt_u32_f32_e32 v4, v4
	v_mul_lo_u32 v7, s1, v4
	v_mul_hi_u32 v7, v4, v7
	v_add_nc_u32_e32 v4, v4, v7
	v_mul_hi_u32 v4, v5, v4
	v_mul_lo_u32 v7, v4, s20
	v_add_nc_u32_e32 v8, 1, v4
	v_sub_nc_u32_e32 v7, v5, v7
	v_subrev_nc_u32_e32 v9, s20, v7
	v_cmp_le_u32_e32 vcc_lo, s20, v7
	v_cndmask_b32_e32 v7, v7, v9, vcc_lo
	v_cndmask_b32_e32 v4, v4, v8, vcc_lo
	v_cmp_le_u32_e32 vcc_lo, s20, v7
	v_add_nc_u32_e32 v8, 1, v4
	v_cndmask_b32_e32 v7, v4, v8, vcc_lo
	v_mov_b32_e32 v8, v3
.LBB0_6:                                ;   in Loop: Header=BB0_2 Depth=1
	s_or_b32 exec_lo, exec_lo, s0
	s_load_dwordx2 s[0:1], s[6:7], 0x0
	v_mul_lo_u32 v4, v8, s20
	v_mul_lo_u32 v11, v7, s21
	v_mad_u64_u32 v[9:10], null, v7, s20, 0
	s_add_u32 s18, s18, 1
	s_addc_u32 s19, s19, 0
	s_add_u32 s6, s6, 8
	s_addc_u32 s7, s7, 0
	s_add_u32 s16, s16, 8
	s_addc_u32 s17, s17, 0
	v_add3_u32 v4, v10, v11, v4
	v_sub_co_u32 v5, vcc_lo, v5, v9
	v_sub_co_ci_u32_e32 v4, vcc_lo, v6, v4, vcc_lo
	s_waitcnt lgkmcnt(0)
	v_mul_lo_u32 v6, s1, v5
	v_mul_lo_u32 v4, s0, v4
	v_mad_u64_u32 v[1:2], null, s0, v5, v[1:2]
	v_cmp_ge_u64_e64 s0, s[18:19], s[10:11]
	s_and_b32 vcc_lo, exec_lo, s0
	v_add3_u32 v2, v6, v2, v4
	s_cbranch_vccnz .LBB0_8
; %bb.7:                                ;   in Loop: Header=BB0_2 Depth=1
	v_mov_b32_e32 v5, v7
	v_mov_b32_e32 v6, v8
	s_branch .LBB0_2
.LBB0_8:
	s_lshl_b64 s[0:1], s[10:11], 3
	v_mul_hi_u32 v4, 0x6906907, v0
	s_add_u32 s0, s14, s0
	s_addc_u32 s1, s15, s1
                                        ; implicit-def: $vgpr37
                                        ; implicit-def: $vgpr47
                                        ; implicit-def: $vgpr43
                                        ; implicit-def: $vgpr25
                                        ; implicit-def: $vgpr39
                                        ; implicit-def: $vgpr15
                                        ; implicit-def: $vgpr11
                                        ; implicit-def: $vgpr31
                                        ; implicit-def: $vgpr21
                                        ; implicit-def: $vgpr17
                                        ; implicit-def: $vgpr23
                                        ; implicit-def: $vgpr27
                                        ; implicit-def: $vgpr29
                                        ; implicit-def: $vgpr33
                                        ; implicit-def: $vgpr35
                                        ; implicit-def: $vgpr19
                                        ; implicit-def: $vgpr51
                                        ; implicit-def: $vgpr53
                                        ; implicit-def: $vgpr49
                                        ; implicit-def: $vgpr45
                                        ; implicit-def: $vgpr41
                                        ; implicit-def: $vgpr13
	s_load_dwordx2 s[0:1], s[0:1], 0x0
	s_load_dwordx2 s[4:5], s[4:5], 0x20
	s_waitcnt lgkmcnt(0)
	v_mul_lo_u32 v5, s0, v8
	v_mul_lo_u32 v6, s1, v7
	v_mad_u64_u32 v[2:3], null, s0, v7, v[1:2]
	v_mul_u32_u24_e32 v1, 39, v4
	v_cmp_gt_u64_e32 vcc_lo, s[4:5], v[7:8]
                                        ; implicit-def: $vgpr7
	v_sub_nc_u32_e32 v55, v0, v1
	v_add3_u32 v3, v6, v3, v5
	v_mov_b32_e32 v1, 0
	v_mov_b32_e32 v0, 0
                                        ; implicit-def: $vgpr5
	v_lshlrev_b64 v[8:9], 3, v[2:3]
                                        ; implicit-def: $vgpr3
	s_and_saveexec_b32 s1, vcc_lo
	s_cbranch_execz .LBB0_12
; %bb.9:
	v_add_nc_u32_e32 v12, 0x4b, v55
	v_add_nc_u32_e32 v13, 0x96, v55
	v_mad_u64_u32 v[0:1], null, s2, v55, 0
	v_add_nc_u32_e32 v14, 0xe1, v55
	v_mad_u64_u32 v[2:3], null, s2, v12, 0
	v_mad_u64_u32 v[4:5], null, s2, v13, 0
	v_mad_u64_u32 v[6:7], null, s2, v14, 0
	v_add_nc_u32_e32 v15, 0x12c, v55
	v_add_nc_u32_e32 v18, 0x177, v55
	v_mad_u64_u32 v[10:11], null, s3, v55, v[1:2]
	v_mad_u64_u32 v[11:12], null, s3, v12, v[3:4]
	v_add_co_u32 v23, s0, s12, v8
	v_add_co_ci_u32_e64 v27, s0, s13, v9, s0
	v_mov_b32_e32 v1, v10
	v_add_nc_u32_e32 v19, 0x1c2, v55
	v_mov_b32_e32 v3, v11
	v_mad_u64_u32 v[10:11], null, s3, v13, v[5:6]
	v_mad_u64_u32 v[11:12], null, s3, v14, v[7:8]
	;; [unrolled: 1-line block ×3, first 2 shown]
	v_lshlrev_b64 v[0:1], 3, v[0:1]
	v_lshlrev_b64 v[2:3], 3, v[2:3]
	v_mov_b32_e32 v5, v10
	v_mad_u64_u32 v[16:17], null, s2, v19, 0
	v_mov_b32_e32 v7, v11
	v_mov_b32_e32 v10, v13
	v_add_co_u32 v0, s0, v23, v0
	v_lshlrev_b64 v[4:5], 3, v[4:5]
	v_add_co_ci_u32_e64 v1, s0, v27, v1, s0
	v_mad_u64_u32 v[10:11], null, s3, v15, v[10:11]
	v_mad_u64_u32 v[14:15], null, s2, v18, 0
	v_add_co_u32 v2, s0, v23, v2
	v_lshlrev_b64 v[6:7], 3, v[6:7]
	v_add_co_ci_u32_e64 v3, s0, v27, v3, s0
	v_add_co_u32 v4, s0, v23, v4
	v_mov_b32_e32 v11, v15
	v_mov_b32_e32 v13, v10
	v_add_co_ci_u32_e64 v5, s0, v27, v5, s0
	v_add_co_u32 v6, s0, v23, v6
	v_mad_u64_u32 v[10:11], null, s3, v18, v[11:12]
	v_add_nc_u32_e32 v11, 0x20d, v55
	v_add_co_ci_u32_e64 v7, s0, v27, v7, s0
	s_clause 0x3
	global_load_dwordx2 v[36:37], v[0:1], off
	global_load_dwordx2 v[46:47], v[2:3], off
	global_load_dwordx2 v[42:43], v[4:5], off
	global_load_dwordx2 v[24:25], v[6:7], off
	v_mov_b32_e32 v2, v17
	v_mad_u64_u32 v[3:4], null, s2, v11, 0
	v_mov_b32_e32 v15, v10
	v_lshlrev_b64 v[0:1], 3, v[12:13]
	v_add_nc_u32_e32 v22, 0x2ee, v55
	v_add_nc_u32_e32 v26, 0x339, v55
	;; [unrolled: 1-line block ×3, first 2 shown]
	s_mov_b32 s4, exec_lo
	v_mad_u64_u32 v[5:6], null, s3, v19, v[2:3]
	v_mov_b32_e32 v2, v4
	v_lshlrev_b64 v[6:7], 3, v[14:15]
	v_add_co_u32 v0, s0, v23, v0
	v_add_nc_u32_e32 v14, 0x258, v55
	v_add_co_ci_u32_e64 v1, s0, v27, v1, s0
	v_mov_b32_e32 v17, v5
	v_mad_u64_u32 v[4:5], null, s3, v11, v[2:3]
	v_add_co_u32 v5, s0, v23, v6
	v_mad_u64_u32 v[10:11], null, s2, v14, 0
	v_add_co_ci_u32_e64 v6, s0, v27, v7, s0
	v_add_nc_u32_e32 v7, 0x2a3, v55
	v_lshlrev_b64 v[12:13], 3, v[16:17]
	v_lshlrev_b64 v[3:4], 3, v[3:4]
	v_mad_u64_u32 v[18:19], null, s2, v22, 0
	v_mad_u64_u32 v[16:17], null, s2, v7, 0
	v_mov_b32_e32 v2, v11
	v_add_co_u32 v12, s0, v23, v12
	v_add_co_ci_u32_e64 v13, s0, v27, v13, s0
	v_mad_u64_u32 v[14:15], null, s3, v14, v[2:3]
	v_mov_b32_e32 v2, v17
	v_add_co_u32 v20, s0, v23, v3
	v_add_co_ci_u32_e64 v21, s0, v27, v4, s0
	v_mad_u64_u32 v[28:29], null, s3, v7, v[2:3]
	v_mov_b32_e32 v2, v19
	v_mov_b32_e32 v11, v14
	v_mad_u64_u32 v[29:30], null, s2, v26, 0
	v_mad_u64_u32 v[31:32], null, s3, v22, v[2:3]
	s_clause 0x3
	global_load_dwordx2 v[38:39], v[0:1], off
	global_load_dwordx2 v[14:15], v[5:6], off
	;; [unrolled: 1-line block ×4, first 2 shown]
	v_mad_u64_u32 v[32:33], null, s2, v34, 0
	v_mov_b32_e32 v0, v30
	v_mov_b32_e32 v17, v28
	v_lshlrev_b64 v[4:5], 3, v[10:11]
	v_mov_b32_e32 v19, v31
                                        ; implicit-def: $vgpr28
                                        ; implicit-def: $vgpr22
                                        ; implicit-def: $vgpr20
	v_mad_u64_u32 v[0:1], null, s3, v26, v[0:1]
	v_mov_b32_e32 v1, v33
	v_lshlrev_b64 v[6:7], 3, v[16:17]
	v_add_co_u32 v4, s0, v23, v4
	v_lshlrev_b64 v[16:17], 3, v[18:19]
	v_add_co_ci_u32_e64 v5, s0, v27, v5, s0
	v_mov_b32_e32 v30, v0
	v_add_co_u32 v0, s0, v23, v6
                                        ; implicit-def: $vgpr18
                                        ; implicit-def: $vgpr26
	s_waitcnt vmcnt(1)
	v_mad_u64_u32 v[10:11], null, s3, v34, v[1:2]
	v_add_co_ci_u32_e64 v1, s0, v27, v7, s0
	v_lshlrev_b64 v[6:7], 3, v[29:30]
                                        ; implicit-def: $vgpr34
                                        ; implicit-def: $vgpr30
	v_mov_b32_e32 v33, v10
	v_add_co_u32 v10, s0, v23, v16
	v_add_co_ci_u32_e64 v11, s0, v27, v17, s0
	v_lshlrev_b64 v[16:17], 3, v[32:33]
	v_add_co_u32 v6, s0, v23, v6
	v_add_co_ci_u32_e64 v7, s0, v27, v7, s0
                                        ; implicit-def: $vgpr32
	v_add_co_u32 v16, s0, v23, v16
	v_add_co_ci_u32_e64 v17, s0, v27, v17, s0
	s_clause 0x4
	global_load_dwordx2 v[40:41], v[4:5], off
	global_load_dwordx2 v[44:45], v[0:1], off
	;; [unrolled: 1-line block ×5, first 2 shown]
	v_mov_b32_e32 v0, 0
	v_mov_b32_e32 v1, 0
                                        ; implicit-def: $vgpr16
                                        ; implicit-def: $vgpr4
                                        ; implicit-def: $vgpr6
                                        ; implicit-def: $vgpr10
	v_cmpx_gt_u32_e32 36, v55
	s_cbranch_execz .LBB0_11
; %bb.10:
	v_add_nc_u32_e32 v16, 39, v55
	v_add_nc_u32_e32 v19, 0xbd, v55
	v_add_nc_u32_e32 v20, 0x108, v55
	v_add_nc_u32_e32 v18, 0x72, v55
	v_add_nc_u32_e32 v22, 0x19e, v55
	v_mad_u64_u32 v[0:1], null, s2, v16, 0
	v_mad_u64_u32 v[6:7], null, s2, v19, 0
	;; [unrolled: 1-line block ×5, first 2 shown]
	v_mov_b32_e32 v1, v7
	v_add_nc_u32_e32 v26, 0x1e9, v55
	v_mov_b32_e32 v7, v11
	v_add_nc_u32_e32 v60, 0x2ca, v55
	v_mad_u64_u32 v[17:18], null, s3, v18, v[5:6]
	v_mad_u64_u32 v[18:19], null, s3, v19, v[1:2]
	v_mad_u64_u32 v[19:20], null, s3, v20, v[7:8]
	v_add_nc_u32_e32 v20, 0x153, v55
	v_mov_b32_e32 v1, v16
	v_mov_b32_e32 v5, v17
	v_mad_u64_u32 v[28:29], null, s2, v26, 0
	v_mad_u64_u32 v[16:17], null, s2, v20, 0
	v_lshlrev_b64 v[0:1], 3, v[0:1]
	v_mov_b32_e32 v7, v18
	v_lshlrev_b64 v[4:5], 3, v[4:5]
	v_mov_b32_e32 v11, v19
	v_mad_u64_u32 v[34:35], null, s2, v60, 0
	v_add_co_u32 v0, s0, v23, v0
	v_lshlrev_b64 v[6:7], 3, v[6:7]
	v_mad_u64_u32 v[17:18], null, s3, v20, v[17:18]
	v_mad_u64_u32 v[18:19], null, s2, v22, 0
	v_add_co_ci_u32_e64 v1, s0, v27, v1, s0
	v_add_co_u32 v4, s0, v23, v4
	v_lshlrev_b64 v[10:11], 3, v[10:11]
	v_add_co_ci_u32_e64 v5, s0, v27, v5, s0
	v_add_co_u32 v6, s0, v23, v6
	v_add_co_ci_u32_e64 v7, s0, v27, v7, s0
	v_add_co_u32 v20, s0, v23, v10
	v_mov_b32_e32 v10, v19
	v_add_co_ci_u32_e64 v21, s0, v27, v11, s0
	v_add_nc_u32_e32 v63, 0x315, v55
	v_lshlrev_b64 v[16:17], 3, v[16:17]
	v_mad_u64_u32 v[30:31], null, s3, v22, v[10:11]
	v_add_nc_u32_e32 v31, 0x234, v55
	s_clause 0x3
	global_load_dwordx2 v[0:1], v[0:1], off
	global_load_dwordx2 v[10:11], v[4:5], off
	;; [unrolled: 1-line block ×4, first 2 shown]
	v_mov_b32_e32 v20, v29
	v_mad_u64_u32 v[56:57], null, s2, v63, 0
	v_mad_u64_u32 v[21:22], null, s2, v31, 0
	v_mov_b32_e32 v19, v30
	v_add_co_u32 v16, s0, v23, v16
	v_add_co_ci_u32_e64 v17, s0, v27, v17, s0
	v_lshlrev_b64 v[18:19], 3, v[18:19]
	v_mad_u64_u32 v[29:30], null, s3, v26, v[20:21]
	v_mov_b32_e32 v20, v22
	v_add_nc_u32_e32 v26, 0x27f, v55
	v_add_nc_u32_e32 v66, 0x3ab, v55
	v_add_co_u32 v18, s0, v23, v18
	v_mad_u64_u32 v[30:31], null, s3, v31, v[20:21]
	v_mad_u64_u32 v[32:33], null, s2, v26, 0
	v_lshlrev_b64 v[28:29], 3, v[28:29]
	v_add_co_ci_u32_e64 v19, s0, v27, v19, s0
	v_mov_b32_e32 v22, v30
	v_mov_b32_e32 v20, v33
	v_add_co_u32 v28, s0, v23, v28
	v_lshlrev_b64 v[21:22], 3, v[21:22]
	v_add_co_ci_u32_e64 v29, s0, v27, v29, s0
	v_mad_u64_u32 v[30:31], null, s3, v26, v[20:21]
	v_mov_b32_e32 v20, v35
	v_add_nc_u32_e32 v26, 0x360, v55
	v_add_co_u32 v58, s0, v23, v21
	v_add_co_ci_u32_e64 v59, s0, v27, v22, s0
	v_mad_u64_u32 v[60:61], null, s3, v60, v[20:21]
	v_mov_b32_e32 v20, v57
	v_mad_u64_u32 v[61:62], null, s2, v26, 0
	v_mov_b32_e32 v33, v30
	v_mad_u64_u32 v[63:64], null, s3, v63, v[20:21]
	v_mad_u64_u32 v[64:65], null, s2, v66, 0
	v_mov_b32_e32 v22, v62
	s_clause 0x3
	global_load_dwordx2 v[30:31], v[16:17], off
	global_load_dwordx2 v[20:21], v[18:19], off
	;; [unrolled: 1-line block ×4, first 2 shown]
	v_lshlrev_b64 v[28:29], 3, v[32:33]
	v_mov_b32_e32 v35, v60
	v_mov_b32_e32 v57, v63
	v_mad_u64_u32 v[32:33], null, s3, v26, v[22:23]
	v_mov_b32_e32 v22, v65
	v_lshlrev_b64 v[33:34], 3, v[34:35]
	v_add_co_u32 v28, s0, v23, v28
	v_add_co_ci_u32_e64 v29, s0, v27, v29, s0
	v_mad_u64_u32 v[58:59], null, s3, v66, v[22:23]
	v_mov_b32_e32 v62, v32
	v_lshlrev_b64 v[56:57], 3, v[56:57]
	v_add_co_u32 v32, s0, v23, v33
	v_add_co_ci_u32_e64 v33, s0, v27, v34, s0
	v_mov_b32_e32 v65, v58
	v_lshlrev_b64 v[34:35], 3, v[61:62]
	v_add_co_u32 v56, s0, v23, v56
	v_add_co_ci_u32_e64 v57, s0, v27, v57, s0
	v_lshlrev_b64 v[58:59], 3, v[64:65]
	v_add_co_u32 v60, s0, v23, v34
	v_add_co_ci_u32_e64 v61, s0, v27, v35, s0
	v_add_co_u32 v22, s0, v23, v58
	v_add_co_ci_u32_e64 v23, s0, v27, v59, s0
	s_clause 0x4
	global_load_dwordx2 v[34:35], v[28:29], off
	global_load_dwordx2 v[32:33], v[32:33], off
	;; [unrolled: 1-line block ×5, first 2 shown]
.LBB0_11:
	s_or_b32 exec_lo, exec_lo, s4
.LBB0_12:
	s_or_b32 exec_lo, exec_lo, s1
	v_add_f32_e32 v56, v36, v46
	s_waitcnt vmcnt(0)
	v_add_f32_e32 v57, v50, v46
	v_sub_f32_e32 v59, v47, v51
	v_add_f32_e32 v60, v52, v42
	v_sub_f32_e32 v62, v43, v53
	v_add_f32_e32 v56, v56, v42
	v_mul_f32_e32 v61, 0x3f62ad3f, v57
	v_add_f32_e32 v63, v48, v24
	v_mul_f32_e32 v64, 0x3f116cb1, v60
	v_sub_f32_e32 v66, v25, v49
	v_add_f32_e32 v56, v56, v24
	v_fmamk_f32 v65, v59, 0x3eedf032, v61
	v_mul_f32_e32 v67, 0x3df6dbef, v63
	v_fmamk_f32 v68, v62, 0x3f52af12, v64
	v_add_f32_e32 v69, v44, v38
	v_add_f32_e32 v56, v56, v38
	;; [unrolled: 1-line block ×3, first 2 shown]
	v_mul_hi_u32 v58, 0xaaaaaaab, v54
	v_sub_f32_e32 v70, v39, v45
	v_fmamk_f32 v71, v66, 0x3f7e222b, v67
	v_add_f32_e32 v56, v56, v14
	v_add_f32_e32 v65, v65, v68
	v_mul_f32_e32 v68, 0xbeb58ec6, v69
	v_add_f32_e32 v72, v40, v14
	v_sub_f32_e32 v75, v15, v41
	v_add_f32_e32 v56, v56, v2
	v_lshrrev_b32_e32 v58, 1, v58
	v_add_f32_e32 v65, v65, v71
	v_fmamk_f32 v71, v70, 0x3f6f5d39, v68
	v_add_f32_e32 v73, v12, v2
	v_mul_f32_e32 v76, 0xbf3f9e67, v72
	v_add_f32_e32 v56, v56, v12
	v_sub_f32_e32 v77, v3, v13
	v_add_f32_e32 v65, v65, v71
	v_mul_f32_e32 v78, 0xbf788fa5, v73
	v_fmamk_f32 v71, v75, 0x3f29c268, v76
	v_add_f32_e32 v56, v40, v56
	v_lshl_add_u32 v58, v58, 1, v58
	v_mul_f32_e32 v79, 0xbeb58ec6, v60
	v_fmamk_f32 v74, v77, 0x3e750f2a, v78
	v_add_f32_e32 v65, v65, v71
	v_add_f32_e32 v56, v44, v56
	v_sub_nc_u32_e32 v54, v54, v58
	v_mul_f32_e32 v58, 0x3f116cb1, v57
	v_mul_f32_e32 v71, 0x3df6dbef, v57
	v_add_f32_e32 v65, v65, v74
	v_add_f32_e32 v74, v48, v56
	v_mul_u32_u24_e32 v56, 0x3cf, v54
	v_fmamk_f32 v54, v59, 0x3f52af12, v58
	v_fmamk_f32 v80, v59, 0x3f7e222b, v71
	v_mul_f32_e32 v81, 0xbf788fa5, v60
	v_fmamk_f32 v82, v62, 0x3f6f5d39, v79
	v_mul_f32_e32 v84, 0xbf788fa5, v63
	v_add_f32_e32 v54, v54, v36
	v_add_f32_e32 v80, v80, v36
	v_fmamk_f32 v83, v62, 0x3e750f2a, v81
	v_mul_f32_e32 v85, 0xbeb58ec6, v63
	v_add_f32_e32 v74, v52, v74
	v_mad_u32_u24 v86, v55, 52, 0
	v_add_f32_e32 v82, v54, v82
	v_add_f32_e32 v80, v80, v83
	v_fmamk_f32 v83, v66, 0x3e750f2a, v84
	v_fmamk_f32 v87, v66, 0xbf6f5d39, v85
	v_mul_f32_e32 v88, 0xbf3f9e67, v69
	v_mul_f32_e32 v89, 0x3f62ad3f, v69
	v_lshl_add_u32 v54, v56, 2, v86
	v_add_f32_e32 v82, v82, v83
	v_add_f32_e32 v80, v80, v87
	v_fmamk_f32 v83, v70, 0xbf29c268, v88
	v_fmamk_f32 v86, v70, 0xbeedf032, v89
	v_mul_f32_e32 v87, 0x3df6dbef, v72
	v_mul_f32_e32 v90, 0x3f116cb1, v72
	v_add_f32_e32 v74, v50, v74
	v_add_f32_e32 v82, v82, v83
	;; [unrolled: 1-line block ×3, first 2 shown]
	v_fmamk_f32 v83, v75, 0xbf7e222b, v87
	v_fmamk_f32 v86, v75, 0x3f52af12, v90
	v_mul_f32_e32 v91, 0xbeb58ec6, v57
	ds_write2_b32 v54, v74, v65 offset1:1
	v_mul_f32_e32 v65, 0xbf3f9e67, v57
	v_add_f32_e32 v74, v82, v83
	v_add_f32_e32 v80, v80, v86
	v_fmamk_f32 v82, v59, 0x3f6f5d39, v91
	v_mul_f32_e32 v83, 0xbf3f9e67, v60
	v_fmamk_f32 v86, v59, 0x3f29c268, v65
	v_mul_f32_e32 v92, 0x3df6dbef, v60
	v_mul_f32_e32 v96, 0x3f62ad3f, v63
	v_add_f32_e32 v82, v82, v36
	v_fmamk_f32 v94, v62, 0xbf29c268, v83
	v_add_f32_e32 v86, v86, v36
	v_fmamk_f32 v95, v62, 0xbf7e222b, v92
	v_mul_f32_e32 v97, 0x3f116cb1, v63
	v_mul_f32_e32 v99, 0x3df6dbef, v69
	v_add_f32_e32 v82, v82, v94
	v_fmamk_f32 v94, v66, 0xbeedf032, v96
	v_add_f32_e32 v86, v86, v95
	;; [unrolled: 6-line block ×3, first 2 shown]
	v_fmamk_f32 v95, v70, 0xbe750f2a, v100
	v_mul_f32_e32 v102, 0xbf788fa5, v72
	v_mul_f32_e32 v103, 0x3f62ad3f, v72
	v_fmamk_f32 v98, v77, 0xbeedf032, v93
	v_mul_f32_e32 v57, 0xbf788fa5, v57
	v_mul_f32_e32 v101, 0xbf3f9e67, v73
	v_add_f32_e32 v82, v82, v94
	v_add_f32_e32 v86, v86, v95
	v_fmamk_f32 v94, v75, 0xbe750f2a, v102
	v_fmamk_f32 v95, v75, 0xbeedf032, v103
	v_add_f32_e32 v74, v74, v98
	v_fmamk_f32 v98, v59, 0x3e750f2a, v57
	v_mul_f32_e32 v60, 0x3f62ad3f, v60
	v_fmac_f32_e32 v57, 0xbe750f2a, v59
	v_fmamk_f32 v104, v77, 0x3f29c268, v101
	v_add_f32_e32 v82, v82, v94
	v_add_f32_e32 v86, v86, v95
	v_mul_f32_e32 v94, 0x3f116cb1, v73
	v_mul_f32_e32 v95, 0xbeb58ec6, v73
	v_add_f32_e32 v98, v98, v36
	v_fmamk_f32 v106, v62, 0xbeedf032, v60
	v_add_f32_e32 v57, v57, v36
	v_fmac_f32_e32 v60, 0x3eedf032, v62
	v_mul_f32_e32 v63, 0xbf3f9e67, v63
	v_add_f32_e32 v80, v80, v104
	v_fmamk_f32 v104, v77, 0xbf52af12, v94
	v_fmamk_f32 v105, v77, 0x3f6f5d39, v95
	v_add_f32_e32 v98, v98, v106
	v_add_f32_e32 v57, v57, v60
	v_fmamk_f32 v60, v66, 0x3f29c268, v63
	v_mul_f32_e32 v69, 0x3f116cb1, v69
	v_fmac_f32_e32 v63, 0xbf29c268, v66
	v_add_f32_e32 v82, v82, v104
	v_add_f32_e32 v86, v86, v105
	ds_write2_b32 v54, v74, v80 offset0:2 offset1:3
	ds_write2_b32 v54, v82, v86 offset0:4 offset1:5
	v_add_f32_e32 v60, v98, v60
	v_fmamk_f32 v74, v70, 0xbf52af12, v69
	v_add_f32_e32 v57, v57, v63
	v_fmac_f32_e32 v69, 0x3f52af12, v70
	v_mul_f32_e32 v63, 0xbeb58ec6, v72
	v_fmac_f32_e32 v91, 0xbf6f5d39, v59
	v_add_f32_e32 v60, v60, v74
	v_fmac_f32_e32 v83, 0x3f29c268, v62
	v_add_f32_e32 v57, v57, v69
	v_fmamk_f32 v69, v75, 0x3f6f5d39, v63
	v_add_f32_e32 v72, v91, v36
	v_fmac_f32_e32 v63, 0xbf6f5d39, v75
	v_fmac_f32_e32 v96, 0x3eedf032, v66
	;; [unrolled: 1-line block ×3, first 2 shown]
	v_add_f32_e32 v60, v60, v69
	v_add_f32_e32 v69, v72, v83
	;; [unrolled: 1-line block ×3, first 2 shown]
	v_mul_f32_e32 v63, 0x3df6dbef, v73
	v_fmac_f32_e32 v99, 0xbf7e222b, v70
	v_add_f32_e32 v65, v65, v36
	v_add_f32_e32 v69, v69, v96
	v_fmac_f32_e32 v92, 0x3f7e222b, v62
	v_fmamk_f32 v72, v77, 0xbf7e222b, v63
	v_fmac_f32_e32 v63, 0x3f7e222b, v77
	v_fmac_f32_e32 v102, 0x3e750f2a, v75
	v_add_f32_e32 v69, v69, v99
	v_fmac_f32_e32 v61, 0xbeedf032, v59
	v_fmac_f32_e32 v58, 0xbf52af12, v59
	;; [unrolled: 1-line block ×3, first 2 shown]
	v_add_f32_e32 v65, v65, v92
	v_fmac_f32_e32 v97, 0xbf52af12, v66
	v_add_f32_e32 v82, v57, v63
	v_add_f32_e32 v57, v69, v102
	v_fmac_f32_e32 v94, 0x3f52af12, v77
	v_add_f32_e32 v59, v61, v36
	v_fmac_f32_e32 v64, 0xbf52af12, v62
	;; [unrolled: 2-line block ×3, first 2 shown]
	v_fmac_f32_e32 v81, 0xbe750f2a, v62
	v_add_f32_e32 v36, v71, v36
	v_add_f32_e32 v65, v65, v97
	v_fmac_f32_e32 v100, 0x3e750f2a, v70
	v_add_f32_e32 v86, v57, v94
	v_add_f32_e32 v57, v59, v64
	;; [unrolled: 1-line block ×3, first 2 shown]
	v_fmac_f32_e32 v67, 0xbf7e222b, v66
	v_add_f32_e32 v59, v36, v81
	v_fmac_f32_e32 v84, 0xbe750f2a, v66
	v_add_f32_e32 v36, v10, v22
	v_add_f32_e32 v65, v65, v100
	v_fmac_f32_e32 v103, 0x3eedf032, v75
	v_add_f32_e32 v80, v60, v72
	v_add_f32_e32 v61, v57, v67
	;; [unrolled: 1-line block ×3, first 2 shown]
	v_fmac_f32_e32 v68, 0xbf6f5d39, v70
	v_sub_f32_e32 v73, v11, v23
	v_mul_f32_e32 v60, 0x3f62ad3f, v36
	v_fmac_f32_e32 v88, 0x3f29c268, v70
	v_add_f32_e32 v57, v6, v26
	v_add_f32_e32 v83, v65, v103
	;; [unrolled: 1-line block ×3, first 2 shown]
	v_fmamk_f32 v61, v73, 0xbeedf032, v60
	v_sub_f32_e32 v74, v7, v27
	v_mul_f32_e32 v63, 0x3f116cb1, v57
	v_add_f32_e32 v68, v58, v88
	v_add_f32_e32 v58, v4, v28
	v_fmac_f32_e32 v85, 0x3f6f5d39, v66
	v_add_f32_e32 v62, v0, v61
	v_fmamk_f32 v66, v74, 0xbf52af12, v63
	v_sub_f32_e32 v71, v5, v29
	v_mul_f32_e32 v64, 0x3df6dbef, v58
	v_add_f32_e32 v61, v30, v32
	v_fmac_f32_e32 v76, 0xbf29c268, v75
	v_add_f32_e32 v67, v62, v66
	v_sub_f32_e32 v72, v31, v33
	v_fmamk_f32 v69, v71, 0xbf7e222b, v64
	v_mul_f32_e32 v66, 0xbeb58ec6, v61
	v_add_f32_e32 v62, v20, v34
	v_add_f32_e32 v59, v59, v85
	v_fmac_f32_e32 v89, 0x3eedf032, v70
	v_fmac_f32_e32 v87, 0x3f7e222b, v75
	;; [unrolled: 1-line block ×3, first 2 shown]
	v_add_f32_e32 v75, v65, v76
	v_add_f32_e32 v69, v67, v69
	v_fmamk_f32 v76, v72, 0xbf6f5d39, v66
	v_sub_f32_e32 v70, v21, v35
	v_mul_f32_e32 v67, 0xbf3f9e67, v62
	v_add_f32_e32 v65, v16, v18
	v_add_f32_e32 v59, v59, v89
	;; [unrolled: 1-line block ×4, first 2 shown]
	v_fmamk_f32 v81, v70, 0xbf29c268, v67
	v_sub_f32_e32 v69, v17, v19
	v_mul_f32_e32 v68, 0xbf788fa5, v65
	v_fmac_f32_e32 v95, 0xbf6f5d39, v77
	v_add_f32_e32 v59, v59, v90
	v_fmac_f32_e32 v93, 0x3eedf032, v77
	v_fmac_f32_e32 v101, 0xbf29c268, v77
	;; [unrolled: 1-line block ×3, first 2 shown]
	v_add_f32_e32 v76, v76, v81
	v_fmamk_f32 v77, v69, 0xbe750f2a, v68
	v_add_f32_e32 v81, v83, v95
	v_add_f32_e32 v83, v59, v101
	v_cmp_gt_u32_e64 s0, 36, v55
	v_add_f32_e32 v79, v79, v93
	v_add_f32_e32 v59, v76, v77
	v_add_f32_e32 v75, v75, v78
	ds_write2_b32 v54, v80, v82 offset0:6 offset1:7
	ds_write2_b32 v54, v81, v86 offset0:8 offset1:9
	;; [unrolled: 1-line block ×3, first 2 shown]
	ds_write_b32 v54, v75 offset:48
	s_and_saveexec_b32 s1, s0
	s_cbranch_execz .LBB0_14
; %bb.13:
	v_mul_f32_e32 v75, 0xbe750f2a, v73
	v_mul_f32_e32 v79, 0x3eedf032, v74
	;; [unrolled: 1-line block ×5, first 2 shown]
	v_fmamk_f32 v80, v36, 0xbf788fa5, v75
	v_fmamk_f32 v84, v57, 0x3f62ad3f, v79
	;; [unrolled: 1-line block ×3, first 2 shown]
	v_fma_f32 v75, 0xbf788fa5, v36, -v75
	v_fmamk_f32 v88, v61, 0x3f116cb1, v86
	v_add_f32_e32 v80, v0, v80
	v_fma_f32 v79, 0x3f62ad3f, v57, -v79
	v_fma_f32 v83, 0xbf3f9e67, v58, -v83
	v_add_f32_e32 v75, v0, v75
	v_mul_f32_e32 v92, 0x3eedf032, v71
	v_add_f32_e32 v80, v80, v84
	v_mul_f32_e32 v84, 0xbf6f5d39, v70
	v_mul_f32_e32 v94, 0x3f6f5d39, v71
	v_add_f32_e32 v75, v75, v79
	v_mul_f32_e32 v76, 0xbeedf032, v73
	v_add_f32_e32 v80, v80, v87
	v_mul_f32_e32 v87, 0xbf29c268, v73
	v_fmamk_f32 v89, v62, 0xbeb58ec6, v84
	v_add_f32_e32 v75, v75, v83
	v_fma_f32 v83, 0x3f116cb1, v61, -v86
	v_add_f32_e32 v79, v80, v88
	v_fmamk_f32 v88, v36, 0xbf3f9e67, v87
	v_mul_f32_e32 v80, 0x3f7e222b, v69
	v_mul_f32_e32 v77, 0xbf52af12, v74
	v_add_f32_e32 v75, v75, v83
	v_add_f32_e32 v79, v79, v89
	;; [unrolled: 1-line block ×3, first 2 shown]
	v_fmamk_f32 v88, v57, 0x3df6dbef, v90
	v_mul_f32_e32 v89, 0xbf52af12, v71
	v_fma_f32 v83, 0xbeb58ec6, v62, -v84
	v_fmamk_f32 v91, v65, 0x3df6dbef, v80
	v_fma_f32 v80, 0x3df6dbef, v65, -v80
	v_add_f32_e32 v84, v86, v88
	v_fmamk_f32 v86, v58, 0x3f116cb1, v89
	v_mul_f32_e32 v88, 0x3e750f2a, v72
	v_add_f32_e32 v75, v75, v83
	v_fma_f32 v83, 0xbf3f9e67, v36, -v87
	v_mul_f32_e32 v87, 0x3eedf032, v70
	v_add_f32_e32 v84, v84, v86
	v_fmamk_f32 v86, v61, 0xbf788fa5, v88
	v_add_f32_e32 v79, v79, v91
	v_add_f32_e32 v83, v0, v83
	v_fma_f32 v90, 0x3df6dbef, v57, -v90
	v_mul_f32_e32 v91, 0xbf6f5d39, v73
	v_add_f32_e32 v84, v84, v86
	v_fmamk_f32 v86, v62, 0x3f62ad3f, v87
	v_add_f32_e32 v75, v75, v80
	v_add_f32_e32 v80, v83, v90
	v_fma_f32 v83, 0x3f116cb1, v58, -v89
	v_mul_f32_e32 v89, 0x3f29c268, v74
	v_add_f32_e32 v84, v84, v86
	v_fmamk_f32 v86, v36, 0xbeb58ec6, v91
	v_mul_f32_e32 v90, 0xbf6f5d39, v69
	v_add_f32_e32 v80, v80, v83
	v_fma_f32 v83, 0xbf788fa5, v61, -v88
	v_fmamk_f32 v88, v57, 0xbf3f9e67, v89
	v_add_f32_e32 v86, v0, v86
	v_fmamk_f32 v93, v65, 0xbeb58ec6, v90
	v_fma_f32 v90, 0xbeb58ec6, v65, -v90
	v_add_f32_e32 v80, v80, v83
	v_fma_f32 v83, 0x3f62ad3f, v62, -v87
	v_add_f32_e32 v86, v86, v88
	v_fmamk_f32 v87, v58, 0x3f62ad3f, v92
	v_mul_f32_e32 v88, 0xbf7e222b, v72
	v_add_f32_e32 v84, v84, v93
	v_add_f32_e32 v80, v80, v83
	v_fma_f32 v83, 0xbeb58ec6, v36, -v91
	v_add_f32_e32 v86, v86, v87
	v_fmamk_f32 v87, v61, 0x3df6dbef, v88
	v_mul_f32_e32 v91, 0x3e750f2a, v70
	v_fma_f32 v89, 0xbf3f9e67, v57, -v89
	v_add_f32_e32 v83, v0, v83
	v_mul_f32_e32 v93, 0xbf7e222b, v73
	v_add_f32_e32 v86, v86, v87
	v_fmamk_f32 v87, v62, 0xbf788fa5, v91
	v_add_f32_e32 v80, v80, v90
	v_add_f32_e32 v83, v83, v89
	v_fma_f32 v89, 0x3f62ad3f, v58, -v92
	v_mul_f32_e32 v90, 0xbe750f2a, v74
	v_add_f32_e32 v86, v86, v87
	v_fmamk_f32 v87, v36, 0x3df6dbef, v93
	v_fma_f32 v88, 0x3df6dbef, v61, -v88
	v_add_f32_e32 v83, v83, v89
	v_fmamk_f32 v89, v57, 0xbf788fa5, v90
	v_mul_f32_e32 v92, 0x3f52af12, v69
	v_add_f32_e32 v87, v0, v87
	v_fma_f32 v93, 0x3df6dbef, v36, -v93
	v_add_f32_e32 v83, v83, v88
	v_fma_f32 v88, 0xbf788fa5, v62, -v91
	v_mul_f32_e32 v91, 0x3eedf032, v72
	v_add_f32_e32 v87, v87, v89
	v_fmamk_f32 v89, v58, 0xbeb58ec6, v94
	v_fmamk_f32 v95, v65, 0x3f116cb1, v92
	v_add_f32_e32 v83, v83, v88
	v_fmamk_f32 v88, v61, 0x3f62ad3f, v91
	v_add_f32_e32 v93, v0, v93
	v_add_f32_e32 v87, v87, v89
	v_mul_f32_e32 v89, 0xbf52af12, v70
	v_fma_f32 v90, 0xbf788fa5, v57, -v90
	v_fma_f32 v92, 0x3f116cb1, v65, -v92
	v_mul_f32_e32 v73, 0xbf52af12, v73
	v_add_f32_e32 v87, v87, v88
	v_fmamk_f32 v88, v62, 0x3f116cb1, v89
	v_add_f32_e32 v90, v93, v90
	v_fma_f32 v93, 0xbeb58ec6, v58, -v94
	v_add_f32_e32 v83, v83, v92
	v_mul_f32_e32 v74, 0xbf6f5d39, v74
	v_add_f32_e32 v87, v87, v88
	v_fmamk_f32 v88, v36, 0x3f116cb1, v73
	v_add_f32_e32 v92, v0, v10
	v_mul_f32_e32 v78, 0xbf7e222b, v71
	v_add_f32_e32 v90, v90, v93
	v_fma_f32 v91, 0x3f62ad3f, v61, -v91
	v_add_f32_e32 v88, v0, v88
	v_fmamk_f32 v93, v57, 0xbeb58ec6, v74
	v_mul_f32_e32 v71, 0xbe750f2a, v71
	v_add_f32_e32 v92, v92, v6
	v_add_f32_e32 v90, v90, v91
	v_fma_f32 v89, 0x3f116cb1, v62, -v89
	v_add_f32_e32 v88, v88, v93
	v_fmamk_f32 v91, v58, 0xbf788fa5, v71
	v_add_f32_e32 v92, v92, v4
	v_sub_f32_e32 v60, v60, v76
	v_add_f32_e32 v89, v90, v89
	v_fma_f32 v36, 0x3f116cb1, v36, -v73
	v_add_f32_e32 v88, v88, v91
	v_add_f32_e32 v91, v92, v30
	;; [unrolled: 1-line block ×3, first 2 shown]
	v_sub_f32_e32 v63, v63, v77
	v_add_f32_e32 v0, v0, v36
	v_fma_f32 v36, 0xbeb58ec6, v57, -v74
	v_add_f32_e32 v90, v91, v20
	v_mul_f32_e32 v81, 0xbf6f5d39, v72
	v_add_f32_e32 v57, v60, v63
	v_sub_f32_e32 v63, v64, v78
	v_add_f32_e32 v0, v0, v36
	v_add_f32_e32 v73, v90, v16
	v_fma_f32 v36, 0xbf788fa5, v58, -v71
	v_mul_f32_e32 v82, 0xbf29c268, v70
	v_mul_f32_e32 v72, 0x3f29c268, v72
	v_add_f32_e32 v57, v57, v63
	v_add_f32_e32 v60, v73, v18
	;; [unrolled: 1-line block ×3, first 2 shown]
	v_mul_f32_e32 v85, 0xbe750f2a, v69
	v_mul_f32_e32 v70, 0x3f7e222b, v70
	v_fmamk_f32 v92, v61, 0xbf3f9e67, v72
	v_add_f32_e32 v58, v34, v60
	v_sub_f32_e32 v60, v66, v81
	v_mul_f32_e32 v94, 0xbf29c268, v69
	v_fmamk_f32 v64, v62, 0x3df6dbef, v70
	v_add_f32_e32 v88, v88, v92
	v_add_f32_e32 v36, v32, v58
	v_fma_f32 v58, 0xbf3f9e67, v61, -v72
	v_add_f32_e32 v57, v57, v60
	v_sub_f32_e32 v60, v67, v82
	v_mul_f32_e32 v61, 0x3eedf032, v69
	v_add_f32_e32 v36, v28, v36
	v_add_f32_e32 v0, v0, v58
	v_fma_f32 v58, 0x3df6dbef, v62, -v70
	v_add_f32_e32 v57, v57, v60
	v_sub_f32_e32 v60, v68, v85
	v_add_f32_e32 v36, v26, v36
	v_fma_f32 v76, 0xbf3f9e67, v65, -v94
	v_add_f32_e32 v0, v0, v58
	v_fma_f32 v58, 0x3f62ad3f, v65, -v61
	v_add_f32_e32 v57, v57, v60
	v_add_f32_e32 v36, v22, v36
	v_add_nc_u32_e32 v60, 0x7ec, v54
	v_fmamk_f32 v93, v65, 0xbf3f9e67, v94
	v_add_f32_e32 v63, v88, v64
	v_fmamk_f32 v62, v65, 0x3f62ad3f, v61
	v_add_f32_e32 v64, v89, v76
	v_add_f32_e32 v0, v0, v58
	ds_write2_b32 v60, v36, v57 offset1:1
	v_add_nc_u32_e32 v36, 0x7f4, v54
	v_add_nc_u32_e32 v57, 0x7fc, v54
	;; [unrolled: 1-line block ×3, first 2 shown]
	v_add_f32_e32 v86, v86, v95
	v_add_nc_u32_e32 v60, 0x80c, v54
	v_add_f32_e32 v61, v87, v93
	v_add_f32_e32 v62, v63, v62
	v_add_nc_u32_e32 v63, 0x814, v54
	ds_write2_b32 v36, v0, v64 offset1:1
	ds_write2_b32 v57, v83, v80 offset1:1
	;; [unrolled: 1-line block ×5, first 2 shown]
	ds_write_b32 v54, v59 offset:2076
.LBB0_14:
	s_or_b32 exec_lo, exec_lo, s1
	v_add_f32_e32 v0, v37, v47
	v_sub_f32_e32 v36, v46, v50
	v_add_f32_e32 v46, v51, v47
	v_add_f32_e32 v47, v53, v43
	v_sub_f32_e32 v42, v42, v52
	v_add_f32_e32 v0, v0, v43
	v_mul_f32_e32 v43, 0xbeedf032, v36
	v_mul_f32_e32 v50, 0xbf52af12, v36
	;; [unrolled: 1-line block ×4, first 2 shown]
	v_add_f32_e32 v0, v0, v25
	v_mul_f32_e32 v58, 0xbf29c268, v36
	v_mul_f32_e32 v36, 0xbe750f2a, v36
	v_mul_f32_e32 v60, 0xbf52af12, v42
	v_fmamk_f32 v63, v46, 0x3f62ad3f, v43
	v_add_f32_e32 v0, v0, v39
	v_fma_f32 v43, 0x3f62ad3f, v46, -v43
	v_mul_f32_e32 v62, 0xbe750f2a, v42
	v_fmamk_f32 v64, v46, 0x3f116cb1, v50
	v_fma_f32 v50, 0x3f116cb1, v46, -v50
	v_add_f32_e32 v0, v0, v15
	v_fmamk_f32 v65, v46, 0x3df6dbef, v52
	v_fma_f32 v52, 0x3df6dbef, v46, -v52
	v_fmamk_f32 v66, v46, 0xbeb58ec6, v57
	v_fma_f32 v57, 0xbeb58ec6, v46, -v57
	v_add_f32_e32 v0, v0, v3
	v_fmamk_f32 v67, v46, 0xbf3f9e67, v58
	v_fma_f32 v58, 0xbf3f9e67, v46, -v58
	;; [unrolled: 5-line block ×3, first 2 shown]
	v_add_f32_e32 v43, v43, v37
	v_mul_f32_e32 v61, 0xbf6f5d39, v42
	v_add_f32_e32 v0, v41, v0
	v_add_f32_e32 v52, v52, v37
	;; [unrolled: 1-line block ×4, first 2 shown]
	v_mul_f32_e32 v60, 0x3f7e222b, v42
	v_add_f32_e32 v0, v45, v0
	v_fmamk_f32 v69, v47, 0xbeb58ec6, v61
	v_fma_f32 v61, 0xbeb58ec6, v47, -v61
	v_add_f32_e32 v67, v67, v37
	v_add_f32_e32 v57, v57, v37
	;; [unrolled: 1-line block ×5, first 2 shown]
	v_sub_f32_e32 v24, v24, v48
	v_add_f32_e32 v63, v63, v37
	v_add_f32_e32 v0, v53, v0
	v_fma_f32 v53, 0xbf788fa5, v47, -v62
	v_add_f32_e32 v64, v64, v37
	v_add_f32_e32 v36, v36, v37
	;; [unrolled: 1-line block ×4, first 2 shown]
	v_mul_f32_e32 v0, 0x3f29c268, v42
	v_add_f32_e32 v52, v52, v53
	v_fmamk_f32 v53, v47, 0x3df6dbef, v60
	v_mul_f32_e32 v42, 0x3eedf032, v42
	v_fmamk_f32 v51, v47, 0xbf788fa5, v62
	v_fmamk_f32 v61, v47, 0xbf3f9e67, v0
	v_fma_f32 v0, 0xbf3f9e67, v47, -v0
	v_add_f32_e32 v48, v67, v53
	v_fma_f32 v53, 0x3df6dbef, v47, -v60
	v_mul_f32_e32 v49, 0xbf7e222b, v24
	v_add_f32_e32 v65, v65, v37
	v_add_f32_e32 v0, v57, v0
	v_fmamk_f32 v57, v47, 0x3f62ad3f, v42
	v_fma_f32 v42, 0x3f62ad3f, v47, -v42
	v_add_f32_e32 v47, v58, v53
	v_mul_f32_e32 v53, 0xbe750f2a, v24
	v_add_f32_e32 v66, v66, v37
	v_add_f32_e32 v68, v68, v37
	;; [unrolled: 1-line block ×4, first 2 shown]
	v_fmamk_f32 v58, v25, 0x3df6dbef, v49
	v_add_f32_e32 v36, v36, v42
	v_fma_f32 v42, 0x3df6dbef, v25, -v49
	v_fmamk_f32 v49, v25, 0xbf788fa5, v53
	v_fma_f32 v53, 0xbf788fa5, v25, -v53
	v_add_f32_e32 v37, v37, v58
	v_mul_f32_e32 v58, 0x3f6f5d39, v24
	v_add_f32_e32 v42, v43, v42
	v_add_f32_e32 v43, v46, v49
	v_mul_f32_e32 v46, 0x3eedf032, v24
	v_add_f32_e32 v51, v65, v51
	v_add_f32_e32 v49, v50, v53
	v_fmamk_f32 v50, v25, 0xbeb58ec6, v58
	v_fma_f32 v53, 0xbeb58ec6, v25, -v58
	v_mul_f32_e32 v58, 0xbf52af12, v24
	v_fmamk_f32 v60, v25, 0x3f62ad3f, v46
	v_fma_f32 v46, 0x3f62ad3f, v25, -v46
	v_sub_f32_e32 v38, v38, v44
	v_add_f32_e32 v50, v51, v50
	v_add_f32_e32 v51, v52, v53
	v_fmamk_f32 v52, v25, 0x3f116cb1, v58
	v_add_f32_e32 v0, v0, v46
	v_mul_f32_e32 v24, 0xbf29c268, v24
	v_fma_f32 v46, 0x3f116cb1, v25, -v58
	v_add_f32_e32 v39, v45, v39
	v_mul_f32_e32 v45, 0xbf6f5d39, v38
	v_add_f32_e32 v44, v48, v52
	v_fmamk_f32 v48, v25, 0xbf3f9e67, v24
	v_fma_f32 v24, 0xbf3f9e67, v25, -v24
	v_add_f32_e32 v25, v47, v46
	v_mul_f32_e32 v46, 0x3f29c268, v38
	v_fmamk_f32 v47, v39, 0xbeb58ec6, v45
	v_sub_f32_e32 v14, v14, v40
	v_add_f32_e32 v24, v36, v24
	v_fma_f32 v36, 0xbeb58ec6, v39, -v45
	v_fmamk_f32 v45, v39, 0xbf3f9e67, v46
	v_add_f32_e32 v37, v37, v47
	v_fma_f32 v46, 0xbf3f9e67, v39, -v46
	v_mul_f32_e32 v47, 0x3eedf032, v38
	v_add_f32_e32 v36, v42, v36
	v_add_f32_e32 v42, v43, v45
	v_mul_f32_e32 v43, 0xbf7e222b, v38
	v_add_f32_e32 v45, v49, v46
	v_fmamk_f32 v46, v39, 0x3f62ad3f, v47
	v_mul_f32_e32 v49, 0x3e750f2a, v38
	v_mul_f32_e32 v38, 0x3f52af12, v38
	v_fmamk_f32 v52, v39, 0x3df6dbef, v43
	v_fma_f32 v43, 0x3df6dbef, v39, -v43
	v_add_f32_e32 v46, v50, v46
	v_fmamk_f32 v50, v39, 0xbf788fa5, v49
	v_fma_f32 v47, 0x3f62ad3f, v39, -v47
	v_add_f32_e32 v15, v41, v15
	v_add_f32_e32 v0, v0, v43
	v_fma_f32 v43, 0xbf788fa5, v39, -v49
	v_add_f32_e32 v40, v44, v50
	v_mul_f32_e32 v41, 0xbf29c268, v14
	v_fmamk_f32 v44, v39, 0x3f116cb1, v38
	v_fma_f32 v38, 0x3f116cb1, v39, -v38
	v_mul_f32_e32 v39, 0x3f7e222b, v14
	v_add_f32_e32 v25, v25, v43
	v_fmamk_f32 v43, v15, 0xbf3f9e67, v41
	v_add_f32_e32 v61, v66, v61
	v_add_f32_e32 v24, v24, v38
	v_fma_f32 v38, 0xbf3f9e67, v15, -v41
	v_fmamk_f32 v41, v15, 0x3df6dbef, v39
	v_fma_f32 v39, 0x3df6dbef, v15, -v39
	v_add_f32_e32 v37, v37, v43
	v_mul_f32_e32 v43, 0xbf52af12, v14
	v_add_f32_e32 v57, v68, v57
	v_add_f32_e32 v36, v36, v38
	;; [unrolled: 1-line block ×3, first 2 shown]
	v_mul_f32_e32 v45, 0x3eedf032, v14
	v_add_f32_e32 v38, v42, v41
	v_mul_f32_e32 v41, 0x3e750f2a, v14
	v_fmamk_f32 v42, v15, 0x3f116cb1, v43
	v_mul_f32_e32 v14, 0xbf6f5d39, v14
	v_sub_f32_e32 v2, v2, v12
	v_fma_f32 v12, 0x3f62ad3f, v15, -v45
	v_add_f32_e32 v53, v61, v60
	v_add_f32_e32 v48, v57, v48
	;; [unrolled: 1-line block ×3, first 2 shown]
	v_fmamk_f32 v46, v15, 0x3f62ad3f, v45
	v_add_f32_e32 v61, v13, v3
	v_mul_f32_e32 v3, 0xbe750f2a, v2
	v_fma_f32 v13, 0xbeb58ec6, v15, -v14
	v_add_f32_e32 v74, v25, v12
	v_mul_f32_e32 v12, 0x3eedf032, v2
	v_add_f32_e32 v47, v51, v47
	v_add_f32_e32 v51, v53, v52
	;; [unrolled: 1-line block ×3, first 2 shown]
	v_fma_f32 v43, 0x3f116cb1, v15, -v43
	v_fmamk_f32 v48, v15, 0xbf788fa5, v41
	v_fma_f32 v41, 0xbf788fa5, v15, -v41
	v_add_f32_e32 v52, v40, v46
	v_fmamk_f32 v40, v15, 0xbeb58ec6, v14
	v_fmamk_f32 v14, v61, 0xbf788fa5, v3
	v_add_f32_e32 v76, v24, v13
	v_fma_f32 v3, 0xbf788fa5, v61, -v3
	v_fmamk_f32 v13, v61, 0x3f62ad3f, v12
	v_mul_f32_e32 v15, 0xbf29c268, v2
	v_sub_f32_e32 v72, v10, v22
	v_add_f32_e32 v43, v47, v43
	v_add_f32_e32 v78, v36, v3
	;; [unrolled: 1-line block ×3, first 2 shown]
	v_fmamk_f32 v3, v61, 0xbf3f9e67, v15
	v_mul_f32_e32 v13, 0x3f52af12, v2
	v_add_f32_e32 v47, v51, v48
	v_add_f32_e32 v0, v0, v41
	;; [unrolled: 1-line block ×4, first 2 shown]
	v_fmamk_f32 v3, v61, 0x3f116cb1, v13
	v_mul_f32_e32 v71, 0xbeedf032, v72
	v_sub_f32_e32 v67, v6, v26
	v_fma_f32 v6, 0x3f116cb1, v61, -v13
	v_add_f32_e32 v66, v7, v27
	v_add_f32_e32 v83, v47, v3
	v_fma_f32 v3, 0x3f62ad3f, v69, -v71
	v_mul_f32_e32 v70, 0xbf52af12, v67
	v_add_f32_e32 v84, v0, v6
	v_mul_f32_e32 v0, 0xbf6f5d39, v2
	v_sub_f32_e32 v64, v4, v28
	v_add_f32_e32 v3, v1, v3
	v_fma_f32 v4, 0x3f116cb1, v66, -v70
	v_add_f32_e32 v63, v5, v29
	v_fmamk_f32 v85, v61, 0xbeb58ec6, v0
	v_fma_f32 v87, 0xbeb58ec6, v61, -v0
	v_lshlrev_b32_e32 v0, 2, v55
	v_mul_f32_e32 v68, 0xbf7e222b, v64
	v_sub_f32_e32 v62, v30, v32
	v_mul_f32_e32 v86, 0x3f7e222b, v2
	v_add_f32_e32 v2, v3, v4
	v_lshlrev_b32_e32 v60, 2, v56
	v_add_nc_u32_e32 v4, 0, v0
	v_fma_f32 v3, 0x3df6dbef, v63, -v68
	v_add_f32_e32 v53, v31, v33
	v_mul_f32_e32 v65, 0xbf6f5d39, v62
	v_fma_f32 v10, 0xbf3f9e67, v61, -v15
	v_add_nc_u32_e32 v58, v4, v60
	v_fma_f32 v12, 0x3f62ad3f, v61, -v12
	v_add_f32_e32 v2, v2, v3
	v_fma_f32 v3, 0xbeb58ec6, v53, -v65
	v_add3_u32 v57, 0, v60, v0
	v_add_nc_u32_e32 v22, 0xa00, v58
	v_add_nc_u32_e32 v32, 0xc00, v58
	;; [unrolled: 1-line block ×4, first 2 shown]
	v_add_f32_e32 v82, v43, v10
	v_sub_f32_e32 v20, v20, v34
	v_add_nc_u32_e32 v10, 0x600, v58
	v_add_f32_e32 v75, v44, v40
	v_add_f32_e32 v77, v37, v14
	;; [unrolled: 1-line block ×4, first 2 shown]
	s_waitcnt lgkmcnt(0)
	s_barrier
	buffer_gl0_inv
	ds_read_b32 v6, v57
	ds_read2_b32 v[50:51], v58 offset0:195 offset1:234
	ds_read2_b32 v[14:15], v4 offset0:95 offset1:134
	;; [unrolled: 1-line block ×12, first 2 shown]
	v_add_f32_e32 v26, v21, v35
	v_mul_f32_e32 v34, 0xbf29c268, v20
	v_sub_f32_e32 v18, v16, v18
	v_add_f32_e32 v16, v17, v19
	v_fmamk_f32 v88, v61, 0x3df6dbef, v86
	v_fma_f32 v61, 0x3df6dbef, v61, -v86
	v_fma_f32 v89, 0xbf3f9e67, v26, -v34
	v_mul_f32_e32 v28, 0xbe750f2a, v18
	v_add_f32_e32 v85, v52, v85
	v_add_nc_u32_e32 v52, 39, v55
	v_add_f32_e32 v76, v76, v61
	v_add_f32_e32 v56, v56, v89
	v_fma_f32 v86, 0xbf788fa5, v16, -v28
	v_add_f32_e32 v75, v75, v88
	v_add_f32_e32 v74, v74, v87
	s_waitcnt lgkmcnt(0)
	s_barrier
	v_add_f32_e32 v61, v56, v86
	buffer_gl0_inv
	ds_write2_b32 v54, v73, v77 offset1:1
	ds_write2_b32 v54, v79, v81 offset0:2 offset1:3
	ds_write2_b32 v54, v83, v85 offset0:4 offset1:5
	;; [unrolled: 1-line block ×5, first 2 shown]
	ds_write_b32 v54, v78 offset:48
	s_and_saveexec_b32 s1, s0
	s_cbranch_execz .LBB0_16
; %bb.15:
	v_add_f32_e32 v11, v1, v11
	v_mul_f32_e32 v54, 0x3f62ad3f, v69
	v_mul_f32_e32 v56, 0x3f116cb1, v66
	v_mul_f32_e32 v76, 0xbf52af12, v72
	v_mul_f32_e32 v77, 0xbf7e222b, v72
	v_add_f32_e32 v7, v11, v7
	v_mul_f32_e32 v78, 0xbf29c268, v72
	v_add_f32_e32 v54, v54, v71
	v_mul_f32_e32 v80, 0x3f29c268, v67
	v_fmamk_f32 v71, v69, 0x3f116cb1, v76
	v_add_f32_e32 v5, v7, v5
	v_mul_f32_e32 v7, 0xbf6f5d39, v72
	v_mul_f32_e32 v72, 0xbe750f2a, v72
	v_add_f32_e32 v56, v56, v70
	v_add_f32_e32 v54, v1, v54
	;; [unrolled: 1-line block ×3, first 2 shown]
	v_mul_f32_e32 v31, 0xbe750f2a, v67
	v_fmamk_f32 v81, v69, 0xbeb58ec6, v7
	v_fma_f32 v7, 0xbeb58ec6, v69, -v7
	v_fmamk_f32 v82, v69, 0xbf788fa5, v72
	v_add_f32_e32 v5, v5, v21
	v_fma_f32 v21, 0x3f116cb1, v69, -v76
	v_fmamk_f32 v76, v69, 0x3df6dbef, v77
	v_fma_f32 v77, 0x3df6dbef, v69, -v77
	v_mul_f32_e32 v73, 0x3df6dbef, v63
	v_add_f32_e32 v5, v5, v17
	v_fmamk_f32 v17, v69, 0xbf3f9e67, v78
	v_fma_f32 v78, 0xbf3f9e67, v69, -v78
	v_mul_f32_e32 v79, 0xbf6f5d39, v67
	v_add_f32_e32 v71, v1, v71
	v_add_f32_e32 v5, v5, v19
	v_fma_f32 v19, 0xbf788fa5, v69, -v72
	v_add_f32_e32 v21, v1, v21
	v_add_f32_e32 v72, v1, v77
	;; [unrolled: 1-line block ×4, first 2 shown]
	v_fmamk_f32 v35, v66, 0xbf788fa5, v31
	v_add_f32_e32 v17, v1, v17
	v_add_f32_e32 v77, v1, v82
	v_fmamk_f32 v69, v66, 0xbeb58ec6, v79
	v_add_f32_e32 v5, v33, v5
	v_add_f32_e32 v33, v1, v76
	;; [unrolled: 1-line block ×3, first 2 shown]
	v_fma_f32 v70, 0xbeb58ec6, v66, -v79
	v_fma_f32 v31, 0xbf788fa5, v66, -v31
	v_add_f32_e32 v5, v29, v5
	v_add_f32_e32 v29, v1, v78
	;; [unrolled: 1-line block ×4, first 2 shown]
	v_fma_f32 v54, 0xbf3f9e67, v66, -v80
	v_add_f32_e32 v5, v27, v5
	v_add_f32_e32 v33, v33, v35
	v_fmamk_f32 v35, v66, 0xbf3f9e67, v80
	v_add_f32_e32 v27, v71, v69
	v_add_f32_e32 v7, v7, v54
	;; [unrolled: 1-line block ×3, first 2 shown]
	v_mul_f32_e32 v23, 0x3f7e222b, v67
	v_mul_f32_e32 v67, 0x3eedf032, v67
	v_add_f32_e32 v21, v21, v70
	v_add_f32_e32 v31, v72, v31
	;; [unrolled: 1-line block ×3, first 2 shown]
	v_fmamk_f32 v56, v66, 0x3df6dbef, v23
	v_fma_f32 v23, 0x3df6dbef, v66, -v23
	v_fmamk_f32 v54, v66, 0x3f62ad3f, v67
	v_mul_f32_e32 v74, 0xbeb58ec6, v53
	v_mul_f32_e32 v11, 0xbf3f9e67, v26
	v_add_f32_e32 v17, v17, v56
	v_mul_f32_e32 v56, 0xbe750f2a, v64
	v_add_f32_e32 v23, v29, v23
	v_fma_f32 v29, 0x3f62ad3f, v66, -v67
	v_add_f32_e32 v66, v73, v68
	v_mul_f32_e32 v68, 0x3f6f5d39, v64
	v_fmamk_f32 v67, v63, 0xbf788fa5, v56
	v_add_f32_e32 v54, v77, v54
	v_add_f32_e32 v1, v1, v29
	;; [unrolled: 1-line block ×3, first 2 shown]
	v_fma_f32 v29, 0xbf788fa5, v63, -v56
	v_fmamk_f32 v56, v63, 0xbeb58ec6, v68
	v_mul_f32_e32 v66, 0x3eedf032, v64
	v_add_f32_e32 v27, v27, v67
	v_fma_f32 v67, 0xbeb58ec6, v63, -v68
	v_add_f32_e32 v21, v21, v29
	v_mul_f32_e32 v29, 0xbf52af12, v64
	v_add_f32_e32 v33, v33, v56
	v_fmamk_f32 v56, v63, 0x3f62ad3f, v66
	v_fma_f32 v66, 0x3f62ad3f, v63, -v66
	v_mul_f32_e32 v64, 0xbf29c268, v64
	v_add_f32_e32 v31, v31, v67
	v_fmamk_f32 v67, v63, 0x3f116cb1, v29
	v_add_f32_e32 v35, v35, v56
	v_fma_f32 v29, 0x3f116cb1, v63, -v29
	v_add_f32_e32 v7, v7, v66
	v_fmamk_f32 v56, v63, 0xbf3f9e67, v64
	v_mul_f32_e32 v66, 0x3f29c268, v62
	v_add_f32_e32 v11, v11, v34
	v_add_f32_e32 v23, v23, v29
	v_fma_f32 v29, 0xbf3f9e67, v63, -v64
	v_add_f32_e32 v63, v74, v65
	v_add_f32_e32 v54, v54, v56
	v_fmamk_f32 v56, v53, 0xbf3f9e67, v66
	v_mul_f32_e32 v64, 0x3eedf032, v62
	v_add_f32_e32 v1, v1, v29
	v_add_f32_e32 v19, v19, v63
	v_fma_f32 v29, 0xbf3f9e67, v53, -v66
	v_add_f32_e32 v27, v27, v56
	v_fmamk_f32 v56, v53, 0x3f62ad3f, v64
	v_mul_f32_e32 v63, 0xbf7e222b, v62
	v_fma_f32 v64, 0x3f62ad3f, v53, -v64
	v_add_f32_e32 v21, v21, v29
	v_mul_f32_e32 v29, 0x3e750f2a, v62
	v_add_f32_e32 v33, v33, v56
	v_fmamk_f32 v56, v53, 0x3df6dbef, v63
	v_fma_f32 v63, 0x3df6dbef, v53, -v63
	v_mul_f32_e32 v62, 0x3f52af12, v62
	v_add_f32_e32 v31, v31, v64
	v_fmamk_f32 v64, v53, 0xbf788fa5, v29
	v_add_f32_e32 v35, v35, v56
	v_fma_f32 v29, 0xbf788fa5, v53, -v29
	v_add_f32_e32 v7, v7, v63
	v_fmamk_f32 v56, v53, 0x3f116cb1, v62
	v_mul_f32_e32 v63, 0x3f7e222b, v20
	v_add_f32_e32 v11, v19, v11
	v_add_f32_e32 v23, v23, v29
	v_fma_f32 v29, 0x3f116cb1, v53, -v62
	v_add_f32_e32 v34, v54, v56
	v_fmamk_f32 v53, v26, 0x3df6dbef, v63
	v_mul_f32_e32 v54, 0xbf52af12, v20
	v_fma_f32 v19, 0x3df6dbef, v26, -v63
	v_add_f32_e32 v1, v1, v29
	v_mul_f32_e32 v75, 0xbf788fa5, v16
	v_add_f32_e32 v27, v27, v53
	v_fmamk_f32 v29, v26, 0x3f116cb1, v54
	v_fma_f32 v53, 0x3f116cb1, v26, -v54
	v_mul_f32_e32 v54, 0x3e750f2a, v20
	v_add_f32_e32 v19, v21, v19
	v_mul_f32_e32 v21, 0x3eedf032, v20
	v_add_f32_e32 v29, v33, v29
	v_mul_f32_e32 v20, 0xbf6f5d39, v20
	v_fmamk_f32 v33, v26, 0xbf788fa5, v54
	v_add_f32_e32 v31, v31, v53
	v_fma_f32 v53, 0xbf788fa5, v26, -v54
	v_fmamk_f32 v54, v26, 0x3f62ad3f, v21
	v_fma_f32 v21, 0x3f62ad3f, v26, -v21
	v_add_f32_e32 v33, v35, v33
	v_fmamk_f32 v35, v26, 0xbeb58ec6, v20
	v_fma_f32 v20, 0xbeb58ec6, v26, -v20
	v_add_f32_e32 v26, v75, v28
	v_add_f32_e32 v21, v23, v21
	v_mul_f32_e32 v23, 0x3eedf032, v18
	v_add_f32_e32 v28, v34, v35
	v_mul_f32_e32 v34, 0xbf29c268, v18
	v_add_f32_e32 v1, v1, v20
	v_add_f32_e32 v11, v11, v26
	v_fmamk_f32 v20, v16, 0x3f62ad3f, v23
	v_fma_f32 v23, 0x3f62ad3f, v16, -v23
	v_fmamk_f32 v26, v16, 0xbf3f9e67, v34
	v_mul_f32_e32 v35, 0x3f52af12, v18
	v_add_f32_e32 v17, v17, v67
	v_add_f32_e32 v20, v27, v20
	v_fma_f32 v27, 0xbf3f9e67, v16, -v34
	v_add_f32_e32 v7, v7, v53
	v_add_f32_e32 v19, v19, v23
	;; [unrolled: 1-line block ×3, first 2 shown]
	v_fma_f32 v29, 0x3f116cb1, v16, -v35
	v_add_f32_e32 v17, v17, v64
	v_fmamk_f32 v26, v16, 0x3f116cb1, v35
	v_add_f32_e32 v27, v31, v27
	v_mul_f32_e32 v31, 0xbf6f5d39, v18
	v_mul_f32_e32 v18, 0x3f7e222b, v18
	v_add_f32_e32 v7, v7, v29
	v_mul_u32_u24_e32 v29, 52, v52
	v_add_f32_e32 v17, v17, v54
	v_add_f32_e32 v26, v33, v26
	v_fmamk_f32 v33, v16, 0xbeb58ec6, v31
	v_fmamk_f32 v34, v16, 0x3df6dbef, v18
	v_fma_f32 v18, 0x3df6dbef, v16, -v18
	v_fma_f32 v16, 0xbeb58ec6, v16, -v31
	v_add3_u32 v29, 0, v29, v60
	v_add_f32_e32 v17, v17, v33
	v_add_f32_e32 v28, v28, v34
	;; [unrolled: 1-line block ×4, first 2 shown]
	ds_write2_b32 v29, v5, v11 offset1:1
	ds_write2_b32 v29, v20, v23 offset0:2 offset1:3
	ds_write2_b32 v29, v26, v17 offset0:4 offset1:5
	ds_write2_b32 v29, v28, v1 offset0:6 offset1:7
	ds_write2_b32 v29, v16, v7 offset0:8 offset1:9
	ds_write2_b32 v29, v27, v19 offset0:10 offset1:11
	ds_write_b32 v29, v61 offset:48
.LBB0_16:
	s_or_b32 exec_lo, exec_lo, s1
	v_and_b32_e32 v1, 0xff, v55
	v_and_b32_e32 v5, 0xff, v52
	v_mov_b32_e32 v21, 5
	v_add_nc_u32_e32 v56, 0x4e, v55
	s_waitcnt lgkmcnt(0)
	v_mul_lo_u16 v1, 0x4f, v1
	v_mul_lo_u16 v11, 0x4f, v5
	s_barrier
	buffer_gl0_inv
	v_and_b32_e32 v23, 0xff, v56
	v_lshrrev_b16 v1, 10, v1
	v_lshrrev_b16 v16, 10, v11
	v_add_nc_u32_e32 v54, 0x75, v55
	v_add_nc_u32_e32 v53, 0x9c, v55
	v_mul_lo_u16 v23, 0x4f, v23
	v_mul_lo_u16 v7, v1, 13
	;; [unrolled: 1-line block ×3, first 2 shown]
	v_and_b32_e32 v62, 0xff, v54
	v_and_b32_e32 v1, 0xffff, v1
	v_lshrrev_b16 v23, 10, v23
	v_sub_nc_u16 v5, v55, v7
	v_sub_nc_u16 v11, v52, v11
	v_mul_lo_u16 v31, 0x4f, v62
	v_mad_u32_u24 v1, 0x104, v1, 0
	v_mul_lo_u16 v33, v23, 13
	v_lshlrev_b32_sdwa v7, v21, v5 dst_sel:DWORD dst_unused:UNUSED_PAD src0_sel:DWORD src1_sel:BYTE_0
	v_and_b32_e32 v23, 0xffff, v23
	v_lshrrev_b16 v65, 10, v31
	v_cmp_gt_u32_e64 s0, 13, v55
	v_sub_nc_u16 v74, v56, v33
	s_clause 0x1
	global_load_dwordx4 v[17:20], v7, s[8:9]
	global_load_dwordx4 v[26:29], v7, s[8:9] offset:16
	v_lshlrev_b32_sdwa v7, v21, v11 dst_sel:DWORD dst_unused:UNUSED_PAD src0_sel:DWORD src1_sel:BYTE_0
	v_mul_lo_u16 v31, v65, 13
	v_lshlrev_b32_sdwa v34, v21, v74 dst_sel:DWORD dst_unused:UNUSED_PAD src0_sel:DWORD src1_sel:BYTE_0
	v_mad_u32_u24 v23, 0x104, v23, 0
	s_clause 0x1
	global_load_dwordx4 v[70:73], v7, s[8:9]
	global_load_dwordx4 v[77:80], v7, s[8:9] offset:16
	v_and_b32_e32 v7, 0xff, v53
	v_sub_nc_u16 v83, v54, v31
	s_clause 0x1
	global_load_dwordx4 v[94:97], v34, s[8:9]
	global_load_dwordx4 v[98:101], v34, s[8:9] offset:16
	v_mul_lo_u16 v33, 0x4f, v7
	v_lshlrev_b32_sdwa v31, v21, v83 dst_sel:DWORD dst_unused:UNUSED_PAD src0_sel:DWORD src1_sel:BYTE_0
	v_lshrrev_b16 v87, 10, v33
	global_load_dwordx4 v[102:105], v31, s[8:9]
	v_mul_lo_u16 v33, v87, 13
	v_sub_nc_u16 v88, v53, v33
	v_lshlrev_b32_sdwa v21, v21, v88 dst_sel:DWORD dst_unused:UNUSED_PAD src0_sel:DWORD src1_sel:BYTE_0
	s_clause 0x2
	global_load_dwordx4 v[106:109], v31, s[8:9] offset:16
	global_load_dwordx4 v[110:113], v21, s[8:9]
	global_load_dwordx4 v[114:117], v21, s[8:9] offset:16
	ds_read2_b32 v[63:64], v58 offset0:195 offset1:234
	ds_read2_b32 v[118:119], v4 offset0:95 offset1:134
	;; [unrolled: 1-line block ×6, first 2 shown]
	ds_read_b32 v69, v57
	s_waitcnt vmcnt(9) lgkmcnt(6)
	v_mul_f32_e32 v21, v63, v18
	v_mul_f32_e32 v34, v50, v18
	s_waitcnt lgkmcnt(5)
	v_mul_f32_e32 v18, v119, v20
	v_mul_f32_e32 v35, v15, v20
	s_waitcnt vmcnt(8) lgkmcnt(4)
	v_mul_f32_e32 v20, v81, v27
	v_fma_f32 v66, v50, v17, -v21
	v_mov_b32_e32 v21, 2
	v_fma_f32 v67, v15, v19, -v18
	s_waitcnt lgkmcnt(3)
	v_mul_f32_e32 v15, v121, v29
	v_mul_f32_e32 v33, v48, v27
	v_fmac_f32_e32 v35, v119, v19
	v_mul_f32_e32 v31, v25, v29
	s_waitcnt vmcnt(7)
	v_mul_f32_e32 v19, v64, v71
	v_fma_f32 v68, v25, v28, -v15
	s_waitcnt lgkmcnt(2)
	v_mul_f32_e32 v15, v85, v73
	v_fmac_f32_e32 v34, v63, v17
	ds_read2_b32 v[17:18], v4 offset0:17 offset1:56
	v_mul_f32_e32 v75, v51, v71
	v_fma_f32 v48, v48, v26, -v20
	v_fma_f32 v84, v46, v72, -v15
	v_and_b32_e32 v15, 0xffff, v16
	v_lshlrev_b32_sdwa v16, v21, v11 dst_sel:DWORD dst_unused:UNUSED_PAD src0_sel:DWORD src1_sel:BYTE_0
	v_fmac_f32_e32 v33, v81, v26
	v_fmac_f32_e32 v31, v121, v28
	v_fma_f32 v81, v51, v70, -v19
	v_mad_u32_u24 v15, 0x104, v15, 0
	ds_read2_b32 v[26:27], v58 offset0:39 offset1:78
	ds_read2_b32 v[19:20], v30 offset0:151 offset1:190
	;; [unrolled: 1-line block ×3, first 2 shown]
	v_fmac_f32_e32 v75, v64, v70
	v_lshlrev_b32_sdwa v5, v21, v5 dst_sel:DWORD dst_unused:UNUSED_PAD src0_sel:DWORD src1_sel:BYTE_0
	ds_read2_b32 v[10:11], v10 offset0:123 offset1:162
	v_and_b32_e32 v51, 0xffff, v65
	v_add3_u32 v70, v15, v16, v60
	ds_read2_b32 v[15:16], v32 offset0:129 offset1:168
	v_mul_f32_e32 v76, v46, v73
	v_lshlrev_b32_sdwa v25, v21, v74 dst_sel:DWORD dst_unused:UNUSED_PAD src0_sel:DWORD src1_sel:BYTE_0
	v_lshlrev_b32_sdwa v50, v21, v83 dst_sel:DWORD dst_unused:UNUSED_PAD src0_sel:DWORD src1_sel:BYTE_0
	v_and_b32_e32 v63, 0xffff, v87
	v_add3_u32 v46, v1, v5, v60
	v_mad_u32_u24 v1, 0x104, v51, 0
	v_fmac_f32_e32 v76, v85, v72
	v_lshlrev_b32_sdwa v21, v21, v88 dst_sel:DWORD dst_unused:UNUSED_PAD src0_sel:DWORD src1_sel:BYTE_0
	v_mad_u32_u24 v5, 0x104, v63, 0
	v_add3_u32 v71, v23, v25, v60
	s_waitcnt vmcnt(6)
	v_mul_f32_e32 v23, v82, v78
	v_add3_u32 v72, v1, v50, v60
	s_waitcnt lgkmcnt(7)
	v_mul_f32_e32 v1, v89, v80
	v_mul_f32_e32 v88, v44, v80
	v_mul_f32_e32 v87, v49, v78
	v_fma_f32 v92, v49, v77, -v23
	v_add3_u32 v49, v5, v21, v60
	v_fma_f32 v93, v44, v79, -v1
	v_fmac_f32_e32 v88, v89, v79
	s_waitcnt vmcnt(5)
	v_mul_f32_e32 v1, v86, v97
	s_waitcnt lgkmcnt(5)
	v_mul_f32_e32 v5, v17, v95
	v_mul_f32_e32 v78, v42, v95
	s_waitcnt vmcnt(4)
	v_mul_f32_e32 v21, v90, v101
	s_waitcnt lgkmcnt(3)
	v_mul_f32_e32 v23, v19, v99
	v_mul_f32_e32 v79, v45, v101
	;; [unrolled: 1-line block ×3, first 2 shown]
	v_fmac_f32_e32 v87, v82, v77
	v_mul_f32_e32 v77, v47, v97
	v_fma_f32 v82, v47, v96, -v1
	s_waitcnt vmcnt(3)
	v_mul_f32_e32 v1, v18, v103
	v_mul_f32_e32 v47, v43, v103
	s_waitcnt lgkmcnt(1)
	v_mul_f32_e32 v25, v10, v105
	v_fma_f32 v89, v42, v94, -v5
	v_fmac_f32_e32 v78, v17, v94
	s_waitcnt vmcnt(2)
	v_mul_f32_e32 v5, v20, v107
	v_mul_f32_e32 v73, v41, v107
	s_waitcnt lgkmcnt(0)
	v_mul_f32_e32 v17, v15, v109
	v_fma_f32 v91, v45, v100, -v21
	v_mul_f32_e32 v74, v36, v109
	s_waitcnt vmcnt(1)
	v_mul_f32_e32 v21, v118, v111
	v_fmac_f32_e32 v79, v90, v100
	v_mul_f32_e32 v50, v11, v113
	v_fma_f32 v90, v40, v98, -v23
	v_fmac_f32_e32 v80, v19, v98
	s_waitcnt vmcnt(0)
	v_mul_f32_e32 v19, v120, v115
	v_mul_f32_e32 v23, v16, v117
	;; [unrolled: 1-line block ×3, first 2 shown]
	v_fmac_f32_e32 v77, v86, v96
	v_mul_f32_e32 v51, v38, v105
	v_mul_f32_e32 v42, v14, v111
	;; [unrolled: 1-line block ×4, first 2 shown]
	v_fma_f32 v85, v43, v102, -v1
	v_fmac_f32_e32 v47, v18, v102
	v_fma_f32 v43, v38, v104, -v25
	v_fma_f32 v83, v41, v106, -v5
	v_fmac_f32_e32 v73, v20, v106
	v_fma_f32 v86, v36, v108, -v17
	v_fmac_f32_e32 v74, v15, v108
	v_fma_f32 v41, v14, v110, -v21
	v_fma_f32 v36, v39, v112, -v50
	;; [unrolled: 1-line block ×4, first 2 shown]
	v_fmac_f32_e32 v40, v16, v116
	v_add_f32_e32 v5, v67, v48
	v_sub_f32_e32 v14, v66, v67
	v_sub_f32_e32 v15, v68, v48
	v_add_f32_e32 v16, v66, v68
	v_sub_f32_e32 v17, v67, v66
	v_sub_f32_e32 v18, v48, v68
	v_add_f32_e32 v19, v2, v81
	v_add_f32_e32 v20, v84, v92
	v_sub_f32_e32 v24, v81, v84
	v_sub_f32_e32 v25, v93, v92
	v_add_f32_e32 v39, v81, v93
	v_sub_f32_e32 v50, v84, v81
	v_sub_f32_e32 v63, v92, v93
	v_fmac_f32_e32 v51, v10, v104
	v_fmac_f32_e32 v44, v11, v112
	;; [unrolled: 1-line block ×3, first 2 shown]
	v_add_f32_e32 v1, v6, v66
	v_sub_f32_e32 v10, v34, v31
	v_sub_f32_e32 v11, v35, v33
	;; [unrolled: 1-line block ×4, first 2 shown]
	v_fma_f32 v5, -0.5, v5, v6
	v_add_f32_e32 v14, v14, v15
	v_fmac_f32_e32 v6, -0.5, v16
	v_add_f32_e32 v15, v17, v18
	v_add_f32_e32 v16, v19, v84
	v_fma_f32 v17, -0.5, v20, v2
	v_add_f32_e32 v18, v24, v25
	v_fma_f32 v2, -0.5, v39, v2
	v_add_f32_e32 v19, v50, v63
	v_add_f32_e32 v20, v3, v89
	;; [unrolled: 1-line block ×3, first 2 shown]
	v_sub_f32_e32 v50, v89, v82
	v_sub_f32_e32 v63, v91, v90
	v_add_f32_e32 v64, v89, v91
	v_sub_f32_e32 v65, v82, v89
	v_sub_f32_e32 v94, v90, v91
	v_add_f32_e32 v95, v12, v85
	v_add_f32_e32 v96, v43, v83
	v_sub_f32_e32 v99, v85, v43
	v_sub_f32_e32 v100, v86, v83
	v_add_f32_e32 v101, v85, v86
	v_sub_f32_e32 v102, v43, v85
	v_sub_f32_e32 v103, v83, v86
	v_add_f32_e32 v105, v36, v38
	v_sub_f32_e32 v106, v41, v36
	v_sub_f32_e32 v107, v37, v38
	v_add_f32_e32 v108, v41, v37
	v_fmac_f32_e32 v42, v118, v110
	v_sub_f32_e32 v25, v78, v79
	v_sub_f32_e32 v39, v77, v80
	;; [unrolled: 1-line block ×4, first 2 shown]
	v_add_f32_e32 v104, v13, v41
	v_add_f32_e32 v63, v50, v63
	v_sub_f32_e32 v112, v44, v45
	v_fma_f32 v24, -0.5, v24, v3
	v_fmac_f32_e32 v3, -0.5, v64
	v_add_f32_e32 v64, v65, v94
	v_add_f32_e32 v65, v99, v100
	;; [unrolled: 1-line block ×4, first 2 shown]
	v_fma_f32 v50, -0.5, v105, v13
	v_fmac_f32_e32 v13, -0.5, v108
	v_fmamk_f32 v100, v10, 0x3f737871, v5
	v_fmac_f32_e32 v5, 0xbf737871, v10
	v_fmamk_f32 v103, v11, 0xbf737871, v6
	v_fmac_f32_e32 v6, 0x3f737871, v11
	;; [unrolled: 2-line block ×4, first 2 shown]
	v_add_f32_e32 v16, v16, v92
	v_add_f32_e32 v20, v20, v82
	;; [unrolled: 1-line block ×3, first 2 shown]
	v_fma_f32 v96, -0.5, v96, v12
	v_fma_f32 v12, -0.5, v101, v12
	v_add_f32_e32 v1, v1, v67
	v_sub_f32_e32 v111, v42, v40
	v_sub_f32_e32 v109, v36, v41
	;; [unrolled: 1-line block ×3, first 2 shown]
	v_add_f32_e32 v101, v104, v36
	v_fmac_f32_e32 v100, 0x3f167918, v11
	v_fmac_f32_e32 v5, 0xbf167918, v11
	;; [unrolled: 1-line block ×8, first 2 shown]
	v_add_f32_e32 v10, v16, v93
	v_add_f32_e32 v11, v20, v90
	v_fmamk_f32 v16, v25, 0x3f737871, v24
	v_fmac_f32_e32 v24, 0xbf737871, v25
	v_fmamk_f32 v20, v39, 0xbf737871, v3
	v_fmac_f32_e32 v3, 0x3f737871, v39
	v_add_f32_e32 v21, v95, v83
	v_fmamk_f32 v23, v97, 0x3f737871, v96
	v_fmamk_f32 v95, v98, 0xbf737871, v12
	v_fmac_f32_e32 v12, 0x3f737871, v98
	v_fmamk_f32 v107, v112, 0xbf737871, v13
	v_fmac_f32_e32 v13, 0x3f737871, v112
	v_add_f32_e32 v1, v1, v48
	v_fmac_f32_e32 v96, 0xbf737871, v97
	v_fmamk_f32 v104, v111, 0x3f737871, v50
	v_fmac_f32_e32 v50, 0xbf737871, v111
	v_add_f32_e32 v102, v109, v110
	v_add_f32_e32 v101, v101, v38
	v_fmac_f32_e32 v16, 0x3f167918, v39
	v_fmac_f32_e32 v24, 0xbf167918, v39
	;; [unrolled: 1-line block ×7, first 2 shown]
	v_add_f32_e32 v1, v1, v68
	v_fmac_f32_e32 v100, 0x3e9e377a, v14
	v_fmac_f32_e32 v96, 0xbf167918, v98
	;; [unrolled: 1-line block ×13, first 2 shown]
	v_add_f32_e32 v11, v11, v91
	v_add_f32_e32 v14, v21, v86
	;; [unrolled: 1-line block ×3, first 2 shown]
	v_fmac_f32_e32 v16, 0x3e9e377a, v63
	v_fmac_f32_e32 v24, 0x3e9e377a, v63
	;; [unrolled: 1-line block ×7, first 2 shown]
	s_barrier
	buffer_gl0_inv
	v_fmac_f32_e32 v96, 0x3e9e377a, v65
	v_fmac_f32_e32 v95, 0x3e9e377a, v94
	;; [unrolled: 1-line block ×5, first 2 shown]
	ds_write2_b32 v46, v1, v100 offset1:13
	ds_write2_b32 v46, v103, v6 offset0:26 offset1:39
	ds_write_b32 v46, v5 offset:208
	ds_write2_b32 v70, v10, v105 offset1:13
	ds_write2_b32 v70, v106, v2 offset0:26 offset1:39
	ds_write_b32 v70, v17 offset:208
	;; [unrolled: 3-line block ×5, first 2 shown]
	s_waitcnt lgkmcnt(0)
	s_barrier
	buffer_gl0_inv
	ds_read2_b32 v[1:2], v4 offset0:17 offset1:69
	ds_read2_b32 v[16:17], v30 offset0:86 offset1:138
	;; [unrolled: 1-line block ×11, first 2 shown]
	ds_read_b32 v63, v57
	ds_read_b32 v64, v58 offset:3692
                                        ; implicit-def: $vgpr65
	s_and_saveexec_b32 s1, s0
	s_cbranch_execz .LBB0_18
; %bb.17:
	ds_read_b32 v50, v58 offset:1248
	ds_read_b32 v59, v58 offset:2548
	;; [unrolled: 1-line block ×3, first 2 shown]
.LBB0_18:
	s_or_b32 exec_lo, exec_lo, s1
	v_add_f32_e32 v30, v35, v33
	v_add_f32_e32 v32, v69, v34
	v_sub_f32_e32 v39, v66, v68
	v_sub_f32_e32 v48, v67, v48
	;; [unrolled: 1-line block ×3, first 2 shown]
	v_fma_f32 v30, -0.5, v30, v69
	v_add_f32_e32 v32, v32, v35
	v_sub_f32_e32 v67, v31, v33
	v_add_f32_e32 v68, v34, v31
	v_sub_f32_e32 v34, v35, v34
	v_fmamk_f32 v35, v39, 0xbf737871, v30
	v_sub_f32_e32 v94, v33, v31
	v_add_f32_e32 v32, v32, v33
	v_fmac_f32_e32 v30, 0x3f737871, v39
	v_fmac_f32_e32 v69, -0.5, v68
	v_add_f32_e32 v66, v66, v67
	v_fmac_f32_e32 v35, 0xbf167918, v48
	v_add_f32_e32 v67, v76, v87
	v_add_f32_e32 v31, v32, v31
	v_fmac_f32_e32 v30, 0x3f167918, v48
	v_add_f32_e32 v32, v34, v94
	v_add_f32_e32 v34, v26, v75
	v_fmamk_f32 v33, v48, 0x3f737871, v69
	v_fmac_f32_e32 v35, 0x3e9e377a, v66
	v_fma_f32 v67, -0.5, v67, v26
	v_sub_f32_e32 v68, v81, v93
	v_fmac_f32_e32 v30, 0x3e9e377a, v66
	v_fmac_f32_e32 v69, 0xbf737871, v48
	v_add_f32_e32 v34, v34, v76
	v_sub_f32_e32 v66, v84, v92
	v_sub_f32_e32 v81, v75, v76
	;; [unrolled: 1-line block ×3, first 2 shown]
	v_add_f32_e32 v92, v75, v88
	v_fmac_f32_e32 v33, 0xbf167918, v39
	v_fmamk_f32 v48, v68, 0xbf737871, v67
	v_fmac_f32_e32 v69, 0x3f167918, v39
	v_add_f32_e32 v34, v34, v87
	v_add_f32_e32 v39, v81, v84
	v_fma_f32 v26, -0.5, v92, v26
	v_fmac_f32_e32 v67, 0x3f737871, v68
	v_add_f32_e32 v81, v27, v78
	v_fmac_f32_e32 v33, 0x3e9e377a, v32
	v_fmac_f32_e32 v48, 0xbf167918, v66
	;; [unrolled: 1-line block ×3, first 2 shown]
	v_add_f32_e32 v32, v34, v88
	v_fmamk_f32 v34, v66, 0x3f737871, v26
	v_sub_f32_e32 v75, v76, v75
	v_sub_f32_e32 v76, v87, v88
	v_fmac_f32_e32 v67, 0x3f167918, v66
	v_add_f32_e32 v84, v77, v80
	v_fmac_f32_e32 v26, 0xbf737871, v66
	v_add_f32_e32 v66, v81, v77
	v_fmac_f32_e32 v48, 0x3e9e377a, v39
	v_fmac_f32_e32 v34, 0xbf167918, v68
	v_add_f32_e32 v75, v75, v76
	v_fma_f32 v76, -0.5, v84, v27
	v_sub_f32_e32 v81, v89, v91
	v_fmac_f32_e32 v67, 0x3e9e377a, v39
	v_fmac_f32_e32 v26, 0x3f167918, v68
	v_add_f32_e32 v39, v66, v80
	v_add_f32_e32 v68, v78, v79
	v_fmamk_f32 v66, v81, 0xbf737871, v76
	v_sub_f32_e32 v82, v82, v90
	v_sub_f32_e32 v84, v78, v77
	;; [unrolled: 1-line block ×3, first 2 shown]
	v_fmac_f32_e32 v27, -0.5, v68
	v_add_f32_e32 v39, v39, v79
	v_fmac_f32_e32 v76, 0x3f737871, v81
	v_sub_f32_e32 v77, v77, v78
	v_sub_f32_e32 v78, v80, v79
	v_add_f32_e32 v79, v51, v73
	v_fmac_f32_e32 v34, 0x3e9e377a, v75
	v_fmac_f32_e32 v26, 0x3e9e377a, v75
	;; [unrolled: 1-line block ×3, first 2 shown]
	v_add_f32_e32 v68, v84, v87
	v_fmamk_f32 v75, v82, 0x3f737871, v27
	v_fmac_f32_e32 v76, 0x3f167918, v82
	v_add_f32_e32 v77, v77, v78
	v_fmac_f32_e32 v27, 0xbf737871, v82
	v_add_f32_e32 v78, v28, v47
	v_fma_f32 v79, -0.5, v79, v28
	v_sub_f32_e32 v80, v85, v86
	v_fmac_f32_e32 v66, 0x3e9e377a, v68
	v_fmac_f32_e32 v75, 0xbf167918, v81
	v_fmac_f32_e32 v76, 0x3e9e377a, v68
	v_fmac_f32_e32 v27, 0x3f167918, v81
	v_add_f32_e32 v68, v78, v51
	v_fmamk_f32 v78, v80, 0xbf737871, v79
	v_sub_f32_e32 v43, v43, v83
	v_sub_f32_e32 v81, v47, v51
	v_sub_f32_e32 v82, v74, v73
	v_fmac_f32_e32 v79, 0x3f737871, v80
	v_add_f32_e32 v83, v47, v74
	v_add_f32_e32 v68, v68, v73
	v_fmac_f32_e32 v78, 0xbf167918, v43
	v_add_f32_e32 v81, v81, v82
	v_fmac_f32_e32 v79, 0x3f167918, v43
	v_fma_f32 v28, -0.5, v83, v28
	v_sub_f32_e32 v47, v51, v47
	v_sub_f32_e32 v73, v73, v74
	v_fmac_f32_e32 v75, 0x3e9e377a, v77
	v_fmac_f32_e32 v27, 0x3e9e377a, v77
	v_fmac_f32_e32 v78, 0x3e9e377a, v81
	v_fmac_f32_e32 v79, 0x3e9e377a, v81
	v_fmamk_f32 v77, v43, 0x3f737871, v28
	v_add_f32_e32 v81, v44, v45
	v_fmac_f32_e32 v28, 0xbf737871, v43
	v_add_f32_e32 v43, v29, v42
	v_sub_f32_e32 v37, v41, v37
	v_add_f32_e32 v41, v47, v73
	v_add_f32_e32 v73, v42, v40
	v_fma_f32 v51, -0.5, v81, v29
	v_fmac_f32_e32 v77, 0xbf167918, v80
	v_fmac_f32_e32 v28, 0x3f167918, v80
	v_add_f32_e32 v43, v43, v44
	v_sub_f32_e32 v36, v36, v38
	v_fmac_f32_e32 v29, -0.5, v73
	v_fmamk_f32 v47, v37, 0xbf737871, v51
	v_fmac_f32_e32 v77, 0x3e9e377a, v41
	v_fmac_f32_e32 v28, 0x3e9e377a, v41
	v_add_f32_e32 v38, v43, v45
	v_sub_f32_e32 v41, v42, v44
	v_sub_f32_e32 v43, v40, v45
	v_fmac_f32_e32 v51, 0x3f737871, v37
	v_fmamk_f32 v73, v36, 0x3f737871, v29
	v_sub_f32_e32 v42, v44, v42
	v_sub_f32_e32 v44, v45, v40
	v_fmac_f32_e32 v29, 0xbf737871, v36
	v_fmac_f32_e32 v47, 0xbf167918, v36
	v_add_f32_e32 v41, v41, v43
	v_fmac_f32_e32 v51, 0x3f167918, v36
	v_fmac_f32_e32 v73, 0xbf167918, v37
	v_add_f32_e32 v36, v42, v44
	v_fmac_f32_e32 v29, 0x3f167918, v37
	v_add_f32_e32 v68, v68, v74
	v_add_f32_e32 v37, v38, v40
	v_fmac_f32_e32 v47, 0x3e9e377a, v41
	v_fmac_f32_e32 v51, 0x3e9e377a, v41
	;; [unrolled: 1-line block ×4, first 2 shown]
	s_waitcnt lgkmcnt(0)
	s_barrier
	buffer_gl0_inv
	ds_write2_b32 v46, v31, v35 offset1:13
	ds_write2_b32 v46, v33, v69 offset0:26 offset1:39
	ds_write_b32 v46, v30 offset:208
	ds_write2_b32 v70, v32, v48 offset1:13
	ds_write2_b32 v70, v34, v26 offset0:26 offset1:39
	ds_write_b32 v70, v67 offset:208
	;; [unrolled: 3-line block ×5, first 2 shown]
	v_add_nc_u32_e32 v28, 0x400, v58
	v_add_nc_u32_e32 v34, 0x800, v58
	;; [unrolled: 1-line block ×4, first 2 shown]
	s_waitcnt lgkmcnt(0)
	s_barrier
	buffer_gl0_inv
	ds_read2_b32 v[26:27], v28 offset0:17 offset1:69
	ds_read2_b32 v[38:39], v34 offset0:86 offset1:138
	;; [unrolled: 1-line block ×11, first 2 shown]
	ds_read_b32 v66, v57
	ds_read_b32 v67, v58 offset:3692
                                        ; implicit-def: $vgpr68
	s_and_saveexec_b32 s1, s0
	s_cbranch_execz .LBB0_20
; %bb.19:
	ds_read_b32 v51, v58 offset:1248
	ds_read_b32 v61, v58 offset:2548
	;; [unrolled: 1-line block ×3, first 2 shown]
.LBB0_20:
	s_or_b32 exec_lo, exec_lo, s1
	v_lshlrev_b32_e32 v69, 1, v55
	v_mov_b32_e32 v70, 0
	v_mul_lo_u16 v48, 0xfd, v62
	v_mul_lo_u16 v7, 0xfd, v7
	v_subrev_nc_u32_e32 v74, 26, v55
	v_mov_b32_e32 v62, 4
	v_lshlrev_b64 v[71:72], 3, v[69:70]
	v_lshrrev_b16 v73, 14, v48
	v_lshrrev_b16 v7, 14, v7
	v_add_nc_u32_e32 v69, 26, v69
	v_add_nc_u32_e32 v48, 0xea, v55
	v_mov_b32_e32 v75, 0xfc1
	v_add_co_u32 v71, s1, s8, v71
	v_add_co_ci_u32_e64 v72, s1, s9, v72, s1
	v_cmp_gt_u32_e64 s1, 26, v55
	v_mul_lo_u16 v49, 0x41, v73
	v_mul_lo_u16 v7, 0x41, v7
	global_load_dwordx4 v[84:87], v[71:72], off offset:416
	v_mov_b32_e32 v72, v70
	v_cndmask_b32_e64 v74, v74, v52, s1
	v_lshlrev_b64 v[69:70], 3, v[69:70]
	v_sub_nc_u16 v76, v54, v49
	v_sub_nc_u16 v77, v53, v7
	v_add_nc_u32_e32 v120, 0x200, v58
	v_lshlrev_b32_e32 v71, 1, v74
	v_lshlrev_b32_sdwa v7, v62, v76 dst_sel:DWORD dst_unused:UNUSED_PAD src0_sel:DWORD src1_sel:BYTE_0
	v_lshlrev_b32_sdwa v49, v62, v77 dst_sel:DWORD dst_unused:UNUSED_PAD src0_sel:DWORD src1_sel:BYTE_0
	v_add_co_u32 v69, s1, s8, v69
	v_lshlrev_b64 v[71:72], 3, v[71:72]
	v_add_co_ci_u32_e64 v70, s1, s9, v70, s1
	s_clause 0x1
	global_load_dwordx4 v[88:91], v7, s[8:9] offset:416
	global_load_dwordx4 v[92:95], v49, s[8:9] offset:416
	v_add_nc_u32_e32 v7, 0x111, v55
	v_add_co_u32 v71, s1, s8, v71
	v_add_co_ci_u32_e64 v72, s1, s9, v72, s1
	v_mul_u32_u24_sdwa v49, v48, v75 dst_sel:DWORD dst_unused:UNUSED_PAD src0_sel:WORD_0 src1_sel:DWORD
	global_load_dwordx4 v[96:99], v[69:70], off offset:416
	v_cmp_lt_u32_e64 s1, 25, v55
	global_load_dwordx4 v[100:103], v[71:72], off offset:416
	v_add_nc_u32_e32 v69, 0x138, v55
	v_mul_u32_u24_sdwa v70, v7, v75 dst_sel:DWORD dst_unused:UNUSED_PAD src0_sel:WORD_0 src1_sel:DWORD
	v_lshrrev_b32_e32 v79, 18, v49
	v_add_nc_u32_e32 v49, 0xc3, v55
	v_mul_u32_u24_sdwa v71, v69, v75 dst_sel:DWORD dst_unused:UNUSED_PAD src0_sel:WORD_0 src1_sel:DWORD
	v_lshrrev_b32_e32 v70, 18, v70
	v_mul_lo_u16 v72, 0x41, v79
	v_and_b32_e32 v75, 0xff, v49
	v_mad_u32_u24 v79, 0x30c, v79, 0
	v_lshrrev_b32_e32 v71, 18, v71
	v_mul_lo_u16 v70, 0x41, v70
	v_sub_nc_u16 v72, v48, v72
	v_mul_lo_u16 v75, 0xfd, v75
	v_mul_lo_u16 v71, 0x41, v71
	v_sub_nc_u16 v70, v7, v70
	v_lshlrev_b32_sdwa v78, v62, v72 dst_sel:DWORD dst_unused:UNUSED_PAD src0_sel:DWORD src1_sel:WORD_0
	v_sub_nc_u16 v7, v69, v71
	v_lshlrev_b32_sdwa v69, v62, v70 dst_sel:DWORD dst_unused:UNUSED_PAD src0_sel:DWORD src1_sel:WORD_0
	global_load_dwordx4 v[104:107], v78, s[8:9] offset:416
	v_lshlrev_b32_sdwa v71, v62, v7 dst_sel:DWORD dst_unused:UNUSED_PAD src0_sel:DWORD src1_sel:WORD_0
	global_load_dwordx4 v[108:111], v69, s[8:9] offset:416
	v_lshrrev_b16 v69, 14, v75
	v_mov_b32_e32 v78, 2
	global_load_dwordx4 v[112:115], v71, s[8:9] offset:416
	v_mul_lo_u16 v69, 0x41, v69
	v_lshlrev_b32_sdwa v76, v78, v76 dst_sel:DWORD dst_unused:UNUSED_PAD src0_sel:DWORD src1_sel:BYTE_0
	v_lshlrev_b32_sdwa v80, v78, v72 dst_sel:DWORD dst_unused:UNUSED_PAD src0_sel:DWORD src1_sel:WORD_0
	v_lshlrev_b32_sdwa v70, v78, v70 dst_sel:DWORD dst_unused:UNUSED_PAD src0_sel:DWORD src1_sel:WORD_0
	v_sub_nc_u16 v75, v49, v69
	v_cndmask_b32_e64 v69, 0, 0x30c, s1
	v_add3_u32 v70, 0, v70, v60
	v_lshlrev_b32_sdwa v62, v62, v75 dst_sel:DWORD dst_unused:UNUSED_PAD src0_sel:DWORD src1_sel:BYTE_0
	v_add_nc_u32_e32 v69, 0, v69
	v_add_nc_u32_e32 v122, 0xc00, v70
	global_load_dwordx4 v[116:119], v62, s[8:9] offset:416
	v_and_b32_e32 v71, 0xffff, v73
	v_lshlrev_b32_e32 v73, 2, v74
	v_lshlrev_b32_sdwa v74, v78, v77 dst_sel:DWORD dst_unused:UNUSED_PAD src0_sel:DWORD src1_sel:BYTE_0
	s_waitcnt vmcnt(0) lgkmcnt(0)
	s_barrier
	v_mad_u32_u24 v77, 0x30c, v71, 0
	buffer_gl0_inv
	v_add3_u32 v71, 0, v74, v60
	v_add3_u32 v74, v69, v73, v60
	v_lshlrev_b32_sdwa v73, v78, v75 dst_sel:DWORD dst_unused:UNUSED_PAD src0_sel:DWORD src1_sel:BYTE_0
	v_add3_u32 v72, v77, v76, v60
	v_add3_u32 v69, v79, v80, v60
	v_add_nc_u32_e32 v62, 52, v58
	v_add_nc_u32_e32 v121, 0x400, v71
	v_add3_u32 v73, 0, v73, v60
	v_mul_f32_e32 v75, v27, v85
	v_mul_f32_e32 v82, v2, v85
	;; [unrolled: 1-line block ×4, first 2 shown]
	v_add_nc_u32_e32 v87, 0x800, v73
	v_fma_f32 v83, v2, v84, -v75
	v_fmac_f32_e32 v82, v27, v84
	v_fma_f32 v84, v17, v86, -v76
	v_fmac_f32_e32 v79, v39, v86
	v_sub_f32_e32 v123, v82, v79
	v_mul_f32_e32 v2, v46, v89
	v_mul_f32_e32 v76, v24, v89
	;; [unrolled: 1-line block ×16, first 2 shown]
	v_add_f32_e32 v103, v83, v84
	v_fma_f32 v80, v24, v88, -v2
	v_fmac_f32_e32 v76, v46, v88
	v_add_f32_e32 v101, v63, v83
	v_fma_f32 v46, v22, v90, -v27
	v_fmac_f32_e32 v75, v44, v90
	v_fma_f32 v24, v25, v92, -v89
	v_fmac_f32_e32 v39, v47, v92
	;; [unrolled: 2-line block ×3, first 2 shown]
	v_fmac_f32_e32 v81, v41, v96
	v_fma_f32 v41, v19, v98, -v95
	v_fmac_f32_e32 v77, v43, v98
	v_fma_f32 v47, v20, v100, -v97
	;; [unrolled: 2-line block ×3, first 2 shown]
	v_fmac_f32_e32 v63, -0.5, v103
	v_mul_f32_e32 v43, v37, v105
	v_mul_f32_e32 v44, v35, v107
	v_mul_f32_e32 v19, v13, v107
	v_fma_f32 v45, v21, v96, -v93
	v_mul_f32_e32 v88, v38, v109
	v_mul_f32_e32 v23, v16, v109
	v_mul_f32_e32 v89, v67, v111
	v_mul_f32_e32 v22, v15, v105
	v_mul_f32_e32 v90, v61, v113
	v_mul_f32_e32 v91, v68, v115
	v_mul_f32_e32 v2, v65, v115
	v_fma_f32 v16, v16, v108, -v88
	v_mul_f32_e32 v21, v64, v111
	v_mul_f32_e32 v27, v59, v113
	v_fmac_f32_e32 v85, v42, v102
	v_add_f32_e32 v42, v101, v84
	v_fma_f32 v15, v15, v104, -v43
	v_fma_f32 v13, v13, v106, -v44
	v_fmac_f32_e32 v19, v35, v106
	v_fmac_f32_e32 v23, v38, v108
	v_fma_f32 v18, v64, v110, -v89
	v_fma_f32 v43, v59, v112, -v90
	;; [unrolled: 1-line block ×3, first 2 shown]
	v_fmac_f32_e32 v2, v68, v114
	v_add_f32_e32 v38, v5, v80
	v_mul_f32_e32 v94, v36, v117
	v_mul_f32_e32 v88, v34, v119
	;; [unrolled: 1-line block ×4, first 2 shown]
	v_add_f32_e32 v59, v80, v46
	v_add_f32_e32 v64, v6, v24
	v_add_f32_e32 v65, v24, v25
	v_fmamk_f32 v68, v123, 0x3f5db3d7, v63
	v_add_f32_e32 v90, v47, v40
	v_fma_f32 v14, v14, v116, -v94
	v_fma_f32 v12, v12, v118, -v88
	v_fmac_f32_e32 v63, 0xbf5db3d7, v123
	v_fmac_f32_e32 v22, v37, v104
	v_add_f32_e32 v37, v45, v41
	v_fmac_f32_e32 v21, v67, v110
	v_fmac_f32_e32 v27, v61, v112
	v_sub_f32_e32 v61, v76, v75
	v_sub_f32_e32 v67, v39, v17
	v_add_f32_e32 v89, v10, v47
	v_sub_f32_e32 v91, v86, v85
	v_fmac_f32_e32 v35, v36, v116
	v_fmac_f32_e32 v20, v34, v118
	v_add_f32_e32 v34, v38, v46
	v_fma_f32 v5, -0.5, v59, v5
	v_add_f32_e32 v36, v64, v25
	v_fmac_f32_e32 v6, -0.5, v65
	v_add_f32_e32 v38, v15, v13
	v_add_f32_e32 v64, v1, v16
	v_fma_f32 v10, -0.5, v90, v10
	ds_write2_b32 v58, v42, v68 offset1:65
	ds_write_b32 v58, v63 offset:520
	v_add_f32_e32 v68, v14, v12
	v_add_f32_e32 v92, v11, v45
	v_sub_f32_e32 v93, v81, v77
	v_fmac_f32_e32 v11, -0.5, v37
	v_add_f32_e32 v65, v16, v18
	v_add_f32_e32 v37, v4, v15
	;; [unrolled: 1-line block ×3, first 2 shown]
	v_fmamk_f32 v63, v61, 0x3f5db3d7, v5
	v_fmac_f32_e32 v5, 0xbf5db3d7, v61
	v_fmamk_f32 v61, v67, 0x3f5db3d7, v6
	v_fmac_f32_e32 v6, 0xbf5db3d7, v67
	v_add_f32_e32 v67, v3, v14
	v_sub_f32_e32 v90, v35, v20
	v_fmac_f32_e32 v4, -0.5, v38
	v_add_f32_e32 v38, v64, v18
	v_fmamk_f32 v64, v91, 0x3f5db3d7, v10
	v_fma_f32 v3, -0.5, v68, v3
	v_fmac_f32_e32 v10, 0xbf5db3d7, v91
	v_add_f32_e32 v92, v92, v41
	v_sub_f32_e32 v59, v22, v19
	v_sub_f32_e32 v88, v23, v21
	v_fmamk_f32 v42, v93, 0x3f5db3d7, v11
	v_fmac_f32_e32 v1, -0.5, v65
	v_fmac_f32_e32 v11, 0xbf5db3d7, v93
	v_add_f32_e32 v65, v67, v12
	ds_write2_b32 v74, v89, v64 offset1:65
	ds_write_b32 v74, v10 offset:520
	ds_write2_b32 v120, v92, v42 offset0:80 offset1:145
	ds_write_b32 v58, v11 offset:1352
	ds_write2_b32 v72, v34, v63 offset1:65
	v_fmamk_f32 v10, v90, 0x3f5db3d7, v3
	v_fmac_f32_e32 v3, 0xbf5db3d7, v90
	v_add_f32_e32 v37, v37, v13
	v_fmamk_f32 v67, v59, 0x3f5db3d7, v4
	v_fmac_f32_e32 v4, 0xbf5db3d7, v59
	v_fmamk_f32 v59, v88, 0x3f5db3d7, v1
	v_fmac_f32_e32 v1, 0xbf5db3d7, v88
	ds_write_b32 v72, v5 offset:520
	ds_write2_b32 v121, v36, v61 offset0:134 offset1:199
	ds_write_b32 v71, v6 offset:2080
	ds_write2_b32 v87, v65, v10 offset0:73 offset1:138
	ds_write_b32 v73, v3 offset:2860
	ds_write2_b32 v69, v37, v67 offset1:65
	ds_write_b32 v69, v4 offset:520
	ds_write2_b32 v122, v38, v59 offset0:12 offset1:77
	ds_write_b32 v70, v1 offset:3640
	s_and_saveexec_b32 s1, s0
	s_cbranch_execz .LBB0_22
; %bb.21:
	v_add_f32_e32 v1, v43, v44
	v_lshlrev_b32_sdwa v3, v78, v7 dst_sel:DWORD dst_unused:UNUSED_PAD src0_sel:DWORD src1_sel:WORD_0
	v_sub_f32_e32 v4, v27, v2
	v_add_f32_e32 v5, v50, v43
	v_fma_f32 v1, -0.5, v1, v50
	v_add3_u32 v3, 0, v3, v60
	v_add_f32_e32 v5, v5, v44
	v_fmamk_f32 v6, v4, 0xbf5db3d7, v1
	v_fmac_f32_e32 v1, 0x3f5db3d7, v4
	v_add_nc_u32_e32 v4, 0xc00, v3
	ds_write2_b32 v4, v5, v1 offset0:12 offset1:77
	ds_write_b32 v3, v6 offset:3640
.LBB0_22:
	s_or_b32 exec_lo, exec_lo, s1
	v_add_f32_e32 v1, v82, v79
	v_add_f32_e32 v3, v66, v82
	v_sub_f32_e32 v4, v83, v84
	v_add_f32_e32 v5, v86, v85
	v_sub_f32_e32 v6, v47, v40
	v_fmac_f32_e32 v66, -0.5, v1
	v_add_f32_e32 v1, v30, v86
	v_add_f32_e32 v10, v31, v81
	v_fma_f32 v5, -0.5, v5, v30
	v_sub_f32_e32 v11, v80, v46
	v_fmamk_f32 v30, v4, 0xbf5db3d7, v66
	v_fmac_f32_e32 v66, 0x3f5db3d7, v4
	v_add_f32_e32 v4, v81, v77
	v_fmamk_f32 v47, v6, 0xbf5db3d7, v5
	v_fmac_f32_e32 v5, 0x3f5db3d7, v6
	v_add_f32_e32 v6, v76, v75
	v_add_f32_e32 v34, v33, v39
	v_fmac_f32_e32 v31, -0.5, v4
	v_sub_f32_e32 v4, v45, v41
	v_add_f32_e32 v45, v10, v77
	v_add_f32_e32 v10, v32, v76
	v_fma_f32 v6, -0.5, v6, v32
	v_add_f32_e32 v50, v34, v17
	v_fmamk_f32 v32, v4, 0xbf5db3d7, v31
	v_fmac_f32_e32 v31, 0x3f5db3d7, v4
	v_add_f32_e32 v4, v10, v75
	v_add_f32_e32 v10, v39, v17
	v_fmamk_f32 v46, v11, 0xbf5db3d7, v6
	v_fmac_f32_e32 v6, 0x3f5db3d7, v11
	v_add_f32_e32 v11, v35, v20
	v_add_f32_e32 v17, v28, v35
	v_fmac_f32_e32 v33, -0.5, v10
	v_sub_f32_e32 v10, v24, v25
	v_add_nc_u32_e32 v38, 0xc00, v58
	v_fma_f32 v28, -0.5, v11, v28
	v_sub_f32_e32 v11, v14, v12
	v_add_f32_e32 v12, v29, v22
	v_fmamk_f32 v59, v10, 0xbf5db3d7, v33
	v_fmac_f32_e32 v33, 0x3f5db3d7, v10
	v_add_f32_e32 v10, v22, v19
	v_fmamk_f32 v63, v11, 0xbf5db3d7, v28
	v_fmac_f32_e32 v28, 0x3f5db3d7, v11
	v_add_f32_e32 v11, v23, v21
	v_add_nc_u32_e32 v24, 0x400, v58
	v_fmac_f32_e32 v29, -0.5, v10
	v_sub_f32_e32 v10, v15, v13
	v_add_f32_e32 v13, v26, v23
	v_fmac_f32_e32 v26, -0.5, v11
	v_sub_f32_e32 v11, v16, v18
	v_add_nc_u32_e32 v25, 0x800, v58
	v_fmamk_f32 v65, v10, 0xbf5db3d7, v29
	v_fmac_f32_e32 v29, 0x3f5db3d7, v10
	v_add_nc_u32_e32 v10, 0xa00, v58
	v_add_nc_u32_e32 v39, 0x600, v58
	v_add_f32_e32 v61, v17, v20
	v_add_f32_e32 v64, v12, v19
	;; [unrolled: 1-line block ×3, first 2 shown]
	v_fmamk_f32 v68, v11, 0xbf5db3d7, v26
	v_fmac_f32_e32 v26, 0x3f5db3d7, v11
	s_waitcnt lgkmcnt(0)
	s_barrier
	buffer_gl0_inv
	ds_read_b32 v42, v57
	ds_read2_b32 v[20:21], v58 offset0:195 offset1:234
	ds_read2_b32 v[14:15], v24 offset0:95 offset1:134
	;; [unrolled: 1-line block ×12, first 2 shown]
	v_add_f32_e32 v3, v3, v79
	v_add_f32_e32 v1, v1, v85
	v_add_nc_u32_e32 v75, 0x200, v62
	s_waitcnt lgkmcnt(0)
	s_barrier
	buffer_gl0_inv
	ds_write2_b32 v58, v3, v30 offset1:65
	ds_write_b32 v58, v66 offset:520
	ds_write2_b32 v74, v1, v47 offset1:65
	ds_write_b32 v74, v5 offset:520
	ds_write2_b32 v75, v45, v32 offset0:67 offset1:132
	v_add_nc_u32_e32 v1, 0x400, v71
	v_add_nc_u32_e32 v3, 0x800, v73
	ds_write_b32 v62, v31 offset:1300
	ds_write2_b32 v72, v4, v46 offset1:65
	ds_write_b32 v72, v6 offset:520
	ds_write2_b32 v1, v50, v59 offset0:134 offset1:199
	ds_write_b32 v71, v33 offset:2080
	v_add_nc_u32_e32 v1, 0xc00, v70
	ds_write2_b32 v3, v61, v63 offset0:73 offset1:138
	ds_write_b32 v73, v28 offset:2860
	ds_write2_b32 v69, v64, v65 offset1:65
	ds_write_b32 v69, v29 offset:520
	ds_write2_b32 v1, v67, v68 offset0:12 offset1:77
	ds_write_b32 v70, v26 offset:3640
	s_and_saveexec_b32 s1, s0
	s_cbranch_execz .LBB0_24
; %bb.23:
	v_mov_b32_e32 v1, 2
	v_add_f32_e32 v3, v27, v2
	v_add_f32_e32 v4, v51, v27
	v_sub_f32_e32 v5, v43, v44
	v_lshlrev_b32_sdwa v1, v1, v7 dst_sel:DWORD dst_unused:UNUSED_PAD src0_sel:DWORD src1_sel:WORD_0
	v_fmac_f32_e32 v51, -0.5, v3
	v_add_f32_e32 v2, v4, v2
	v_add3_u32 v1, 0, v1, v60
	v_fmamk_f32 v3, v5, 0xbf5db3d7, v51
	v_fmamk_f32 v5, v5, 0x3f5db3d7, v51
	v_add_nc_u32_e32 v4, 0xc00, v1
	ds_write2_b32 v4, v2, v3 offset0:12 offset1:77
	ds_write_b32 v1, v5 offset:3640
.LBB0_24:
	s_or_b32 exec_lo, exec_lo, s1
	s_waitcnt lgkmcnt(0)
	s_barrier
	buffer_gl0_inv
	s_and_saveexec_b32 s0, vcc_lo
	s_cbranch_execz .LBB0_26
; %bb.25:
	v_lshlrev_b32_e32 v1, 2, v53
	v_mov_b32_e32 v2, 0
	v_add_nc_u32_e32 v32, 0x400, v58
	v_add_nc_u32_e32 v26, 0x600, v58
	;; [unrolled: 1-line block ×4, first 2 shown]
	v_lshlrev_b64 v[3:4], 3, v[1:2]
	v_lshlrev_b32_e32 v1, 2, v54
	v_add_nc_u32_e32 v97, 0x800, v58
	v_lshlrev_b64 v[5:6], 3, v[1:2]
	v_mov_b32_e32 v1, v2
	v_add_co_u32 v3, vcc_lo, s8, v3
	v_add_co_ci_u32_e32 v4, vcc_lo, s9, v4, vcc_lo
	v_lshlrev_b64 v[0:1], 3, v[0:1]
	s_clause 0x1
	global_load_dwordx4 v[43:46], v[3:4], off offset:1456
	global_load_dwordx4 v[59:62], v[3:4], off offset:1472
	v_add_co_u32 v3, vcc_lo, s8, v5
	v_add_co_ci_u32_e32 v4, vcc_lo, s9, v6, vcc_lo
	v_add_co_u32 v0, vcc_lo, s8, v0
	v_add_co_ci_u32_e32 v1, vcc_lo, s9, v1, vcc_lo
	s_clause 0x3
	global_load_dwordx4 v[63:66], v[3:4], off offset:1456
	global_load_dwordx4 v[67:70], v[3:4], off offset:1472
	;; [unrolled: 1-line block ×4, first 2 shown]
	v_lshlrev_b32_e32 v1, 2, v56
	v_lshlrev_b64 v[0:1], 3, v[1:2]
	v_add_co_u32 v0, vcc_lo, s8, v0
	v_add_co_ci_u32_e32 v1, vcc_lo, s9, v1, vcc_lo
	s_clause 0x1
	global_load_dwordx4 v[79:82], v[0:1], off offset:1456
	global_load_dwordx4 v[83:86], v[0:1], off offset:1472
	v_lshlrev_b32_e32 v1, 2, v52
	v_lshlrev_b64 v[0:1], 3, v[1:2]
	v_add_co_u32 v0, vcc_lo, s8, v0
	v_add_co_ci_u32_e32 v1, vcc_lo, s9, v1, vcc_lo
	s_clause 0x1
	global_load_dwordx4 v[4:7], v[0:1], off offset:1456
	global_load_dwordx4 v[0:3], v[0:1], off offset:1472
	ds_read2_b32 v[50:51], v32 offset0:95 offset1:134
	ds_read2_b32 v[87:88], v26 offset0:123 offset1:162
	;; [unrolled: 1-line block ×7, first 2 shown]
	ds_read_b32 v33, v57
	ds_read2_b32 v[57:58], v32 offset0:17 offset1:56
	ds_read2_b32 v[93:94], v97 offset0:151 offset1:190
	;; [unrolled: 1-line block ×5, first 2 shown]
	s_waitcnt vmcnt(9)
	v_mul_f32_e32 v32, v41, v46
	v_mul_f32_e32 v101, v14, v44
	s_waitcnt lgkmcnt(12)
	v_mul_f32_e32 v44, v50, v44
	s_waitcnt lgkmcnt(11)
	v_mul_f32_e32 v46, v88, v46
	s_waitcnt vmcnt(8)
	v_mul_f32_e32 v102, v16, v60
	v_mul_f32_e32 v103, v39, v62
	s_waitcnt lgkmcnt(10)
	v_mul_f32_e32 v47, v90, v62
	s_waitcnt lgkmcnt(9)
	v_mul_f32_e32 v60, v91, v60
	v_fmac_f32_e32 v32, v88, v45
	v_fmac_f32_e32 v101, v50, v43
	v_fma_f32 v14, v14, v43, -v44
	v_fma_f32 v50, v41, v45, -v46
	v_fmac_f32_e32 v102, v91, v59
	v_fmac_f32_e32 v103, v90, v61
	v_fma_f32 v61, v39, v61, -v47
	v_fma_f32 v59, v16, v59, -v60
	s_waitcnt vmcnt(7)
	v_mul_f32_e32 v60, v40, v66
	v_mul_f32_e32 v16, v87, v66
	;; [unrolled: 1-line block ×3, first 2 shown]
	s_waitcnt lgkmcnt(4)
	v_mul_f32_e32 v46, v58, v64
	s_waitcnt vmcnt(6)
	v_mul_f32_e32 v45, v38, v70
	v_mul_f32_e32 v64, v35, v68
	s_waitcnt lgkmcnt(3)
	v_mul_f32_e32 v66, v94, v68
	v_mul_f32_e32 v47, v89, v70
	s_waitcnt vmcnt(5)
	v_mul_f32_e32 v44, v20, v72
	v_mul_f32_e32 v41, v15, v74
	s_waitcnt vmcnt(4)
	v_mul_f32_e32 v39, v17, v78
	v_mul_f32_e32 v43, v12, v76
	;; [unrolled: 1-line block ×3, first 2 shown]
	s_waitcnt lgkmcnt(1)
	v_mul_f32_e32 v70, v97, v76
	v_mul_f32_e32 v72, v30, v72
	v_mul_f32_e32 v74, v92, v78
	v_fmac_f32_e32 v60, v87, v65
	v_fma_f32 v65, v40, v65, -v16
	v_fmac_f32_e32 v62, v58, v63
	v_fma_f32 v58, v37, v63, -v46
	;; [unrolled: 2-line block ×4, first 2 shown]
	v_sub_f32_e32 v16, v32, v101
	v_sub_f32_e32 v66, v102, v103
	v_fmac_f32_e32 v39, v92, v77
	v_add_f32_e32 v69, v101, v103
	v_fma_f32 v35, v17, v77, -v74
	v_sub_f32_e32 v17, v101, v32
	v_fmac_f32_e32 v43, v97, v75
	v_fma_f32 v37, v12, v75, -v70
	v_sub_f32_e32 v12, v103, v102
	v_add_f32_e32 v70, v32, v102
	v_add_f32_e32 v75, v101, v29
	v_sub_f32_e32 v76, v50, v14
	v_fmac_f32_e32 v41, v51, v73
	v_sub_f32_e32 v51, v59, v61
	v_add_f32_e32 v77, v14, v61
	v_sub_f32_e32 v78, v14, v50
	v_fmac_f32_e32 v44, v30, v71
	v_fma_f32 v40, v20, v71, -v72
	v_sub_f32_e32 v20, v61, v59
	v_add_f32_e32 v30, v50, v59
	v_add_f32_e32 v71, v25, v14
	s_waitcnt vmcnt(3)
	v_mul_f32_e32 v72, v36, v80
	v_mul_f32_e32 v87, v23, v82
	s_waitcnt vmcnt(2)
	v_mul_f32_e32 v46, v19, v86
	v_mul_f32_e32 v88, v34, v84
	;; [unrolled: 1-line block ×5, first 2 shown]
	s_waitcnt lgkmcnt(0)
	v_mul_f32_e32 v86, v100, v86
	v_sub_f32_e32 v67, v14, v61
	v_sub_f32_e32 v74, v50, v59
	v_fma_f32 v38, v15, v73, -v68
	v_sub_f32_e32 v68, v32, v102
	v_add_f32_e32 v66, v16, v66
	v_add_f32_e32 v89, v17, v12
	;; [unrolled: 1-line block ×4, first 2 shown]
	v_fma_f32 v15, -0.5, v69, v29
	v_fma_f32 v14, -0.5, v77, v25
	v_add_f32_e32 v69, v78, v20
	v_fma_f32 v17, -0.5, v70, v29
	v_fma_f32 v16, -0.5, v30, v25
	v_add_f32_e32 v25, v50, v71
	v_fmac_f32_e32 v72, v57, v79
	v_sub_f32_e32 v29, v62, v60
	v_fma_f32 v32, v36, v79, -v80
	v_fmac_f32_e32 v87, v96, v81
	v_fma_f32 v70, v23, v81, -v82
	v_add_f32_e32 v20, v60, v64
	v_sub_f32_e32 v23, v58, v65
	v_sub_f32_e32 v50, v47, v63
	v_add_f32_e32 v51, v65, v63
	v_fmac_f32_e32 v88, v93, v83
	v_sub_f32_e32 v71, v62, v45
	v_fma_f32 v34, v34, v83, -v84
	v_sub_f32_e32 v77, v60, v62
	v_fma_f32 v78, v19, v85, -v86
	s_waitcnt vmcnt(1)
	v_mul_f32_e32 v79, v21, v5
	v_add_f32_e32 v19, v62, v45
	v_mul_f32_e32 v81, v22, v7
	v_mul_f32_e32 v5, v31, v5
	;; [unrolled: 1-line block ×3, first 2 shown]
	v_add_f32_e32 v84, v58, v47
	v_add_f32_e32 v62, v62, v28
	v_sub_f32_e32 v73, v101, v103
	v_sub_f32_e32 v30, v45, v64
	v_sub_f32_e32 v57, v58, v47
	v_fmac_f32_e32 v46, v100, v85
	v_sub_f32_e32 v80, v64, v45
	v_sub_f32_e32 v82, v65, v58
	;; [unrolled: 1-line block ×3, first 2 shown]
	v_add_f32_e32 v58, v24, v58
	s_waitcnt vmcnt(0)
	v_mul_f32_e32 v85, v18, v3
	v_mul_f32_e32 v86, v13, v1
	;; [unrolled: 1-line block ×4, first 2 shown]
	v_sub_f32_e32 v91, v44, v41
	v_sub_f32_e32 v92, v39, v43
	v_add_f32_e32 v96, v41, v43
	v_add_f32_e32 v101, v38, v37
	v_fmac_f32_e32 v79, v31, v4
	v_fmac_f32_e32 v81, v95, v6
	v_fma_f32 v95, v21, v4, -v5
	v_fma_f32 v7, v22, v6, -v7
	v_fma_f32 v22, -0.5, v20, v28
	v_fma_f32 v21, -0.5, v51, v24
	;; [unrolled: 1-line block ×4, first 2 shown]
	v_add_f32_e32 v24, v25, v59
	v_add_f32_e32 v84, v23, v50
	;; [unrolled: 1-line block ×3, first 2 shown]
	v_fmamk_f32 v6, v74, 0xbf737871, v15
	v_fmac_f32_e32 v15, 0x3f737871, v74
	v_add_f32_e32 v31, v87, v88
	v_add_f32_e32 v109, v11, v32
	v_sub_f32_e32 v76, v60, v64
	v_add_f32_e32 v25, v29, v30
	v_add_f32_e32 v77, v77, v80
	;; [unrolled: 1-line block ×3, first 2 shown]
	v_fmac_f32_e32 v85, v99, v2
	v_fmamk_f32 v5, v68, 0x3f737871, v14
	v_fmac_f32_e32 v14, 0xbf737871, v68
	v_sub_f32_e32 v29, v72, v87
	v_fmac_f32_e32 v86, v98, v0
	v_sub_f32_e32 v30, v46, v88
	v_fma_f32 v2, v18, v2, -v90
	v_sub_f32_e32 v18, v32, v78
	v_fma_f32 v83, v13, v0, -v1
	v_sub_f32_e32 v59, v32, v70
	v_add_f32_e32 v91, v91, v92
	v_fma_f32 v51, -0.5, v96, v33
	v_fma_f32 v50, -0.5, v101, v42
	v_sub_f32_e32 v92, v70, v32
	v_sub_f32_e32 v96, v34, v78
	v_add_f32_e32 v101, v32, v78
	v_add_f32_e32 v0, v24, v61
	v_fmac_f32_e32 v6, 0x3f167918, v67
	v_fmac_f32_e32 v15, 0xbf167918, v67
	v_add_f32_e32 v61, v64, v23
	v_fma_f32 v32, -0.5, v31, v27
	v_add_f32_e32 v64, v109, v70
	v_add_f32_e32 v109, v10, v95
	v_sub_f32_e32 v36, v65, v63
	v_add_f32_e32 v107, v44, v39
	v_add_f32_e32 v12, v102, v12
	v_fmamk_f32 v3, v73, 0xbf737871, v16
	v_fmac_f32_e32 v16, 0x3f737871, v73
	v_add_f32_e32 v28, v58, v65
	v_sub_f32_e32 v82, v70, v34
	v_add_f32_e32 v62, v70, v34
	v_sub_f32_e32 v90, v72, v46
	v_sub_f32_e32 v65, v87, v72
	;; [unrolled: 1-line block ×3, first 2 shown]
	v_add_f32_e32 v102, v72, v46
	v_add_f32_e32 v72, v72, v27
	v_fmac_f32_e32 v5, 0xbf167918, v73
	v_fmac_f32_e32 v14, 0x3f167918, v73
	v_add_f32_e32 v73, v29, v30
	v_add_f32_e32 v92, v92, v96
	v_fma_f32 v29, -0.5, v101, v11
	v_sub_f32_e32 v96, v7, v83
	v_sub_f32_e32 v70, v95, v7
	v_add_f32_e32 v101, v7, v83
	v_sub_f32_e32 v112, v7, v95
	v_fmac_f32_e32 v6, 0x3e9e377a, v66
	v_fmac_f32_e32 v15, 0x3e9e377a, v66
	v_add_f32_e32 v7, v109, v7
	v_fmamk_f32 v66, v18, 0x3f737871, v32
	v_fmac_f32_e32 v32, 0xbf737871, v18
	v_fmamk_f32 v4, v67, 0x3f737871, v17
	v_fmac_f32_e32 v17, 0xbf737871, v67
	v_fma_f32 v58, -0.5, v107, v33
	v_fmac_f32_e32 v3, 0xbf167918, v68
	v_fmac_f32_e32 v16, 0x3f167918, v68
	v_fmamk_f32 v13, v57, 0x3f737871, v22
	v_fmamk_f32 v24, v36, 0xbf737871, v20
	v_fmac_f32_e32 v20, 0x3f737871, v36
	v_fmac_f32_e32 v22, 0xbf737871, v57
	v_fma_f32 v31, -0.5, v62, v11
	v_add_f32_e32 v99, v65, v99
	v_fma_f32 v30, -0.5, v102, v27
	v_add_f32_e32 v11, v87, v72
	v_sub_f32_e32 v65, v79, v81
	v_sub_f32_e32 v67, v85, v86
	v_add_f32_e32 v68, v81, v86
	v_add_f32_e32 v107, v79, v26
	v_fmac_f32_e32 v66, 0x3f167918, v82
	v_fmac_f32_e32 v32, 0xbf167918, v82
	v_add_f32_e32 v7, v7, v83
	v_sub_f32_e32 v93, v38, v37
	v_sub_f32_e32 v60, v78, v34
	;; [unrolled: 1-line block ×6, first 2 shown]
	v_add_f32_e32 v95, v95, v2
	v_fmac_f32_e32 v24, 0x3f167918, v57
	v_fmac_f32_e32 v20, 0xbf167918, v57
	;; [unrolled: 1-line block ×4, first 2 shown]
	v_add_f32_e32 v11, v88, v11
	v_add_f32_e32 v34, v64, v34
	;; [unrolled: 1-line block ×3, first 2 shown]
	v_fma_f32 v64, -0.5, v68, v26
	v_add_f32_e32 v57, v81, v107
	v_fmamk_f32 v65, v90, 0xbf737871, v31
	v_fmamk_f32 v68, v82, 0xbf737871, v30
	v_fmac_f32_e32 v30, 0x3f737871, v82
	v_fmac_f32_e32 v31, 0x3f737871, v90
	v_fmac_f32_e32 v66, 0x3e9e377a, v73
	v_fmac_f32_e32 v32, 0x3e9e377a, v73
	v_add_f32_e32 v73, v2, v7
	v_add_f32_e32 v2, v40, v35
	v_sub_f32_e32 v94, v40, v35
	v_sub_f32_e32 v106, v41, v44
	;; [unrolled: 1-line block ×3, first 2 shown]
	v_fmac_f32_e32 v4, 0x3f167918, v74
	v_fmac_f32_e32 v17, 0xbf167918, v74
	v_add_f32_e32 v74, v59, v60
	v_fmamk_f32 v62, v93, 0xbf737871, v58
	v_fmac_f32_e32 v65, 0xbf167918, v98
	v_fmac_f32_e32 v68, 0x3f167918, v18
	;; [unrolled: 1-line block ×3, first 2 shown]
	v_add_f32_e32 v46, v46, v11
	v_fmac_f32_e32 v31, 0x3f167918, v98
	v_add_f32_e32 v11, v86, v57
	v_fma_f32 v57, -0.5, v2, v42
	v_fmac_f32_e32 v58, 0x3f737871, v93
	v_sub_f32_e32 v2, v38, v40
	v_sub_f32_e32 v18, v37, v35
	v_add_f32_e32 v63, v28, v63
	v_fmac_f32_e32 v65, 0x3e9e377a, v74
	v_fmac_f32_e32 v31, 0x3e9e377a, v74
	v_add_f32_e32 v74, v85, v11
	v_add_f32_e32 v11, v106, v108
	v_fmac_f32_e32 v62, 0x3f167918, v94
	v_fmac_f32_e32 v58, 0xbf167918, v94
	v_add_f32_e32 v18, v2, v18
	v_add_f32_e32 v2, v44, v33
	;; [unrolled: 1-line block ×4, first 2 shown]
	v_mad_u64_u32 v[33:34], null, s2, v55, 0
	v_add_f32_e32 v27, v47, v63
	v_add_f32_e32 v47, v70, v72
	v_fmamk_f32 v70, v87, 0xbf737871, v64
	v_fmac_f32_e32 v64, 0x3f737871, v87
	v_fmac_f32_e32 v62, 0x3e9e377a, v11
	;; [unrolled: 1-line block ×3, first 2 shown]
	v_add_f32_e32 v11, v42, v40
	v_add_f32_e32 v2, v41, v2
	v_sub_f32_e32 v102, v79, v85
	v_fma_f32 v63, -0.5, v101, v10
	v_sub_f32_e32 v97, v40, v38
	v_sub_f32_e32 v105, v41, v43
	v_fmac_f32_e32 v3, 0x3e9e377a, v69
	v_fmac_f32_e32 v13, 0x3e9e377a, v25
	;; [unrolled: 1-line block ×5, first 2 shown]
	v_add_f32_e32 v11, v11, v38
	v_add_f32_e32 v25, v43, v2
	v_mov_b32_e32 v2, v34
	v_mad_u64_u32 v[40:41], null, s2, v49, 0
	v_sub_f32_e32 v104, v44, v39
	v_add_nc_u32_e32 v44, 0x186, v55
	v_add_f32_e32 v1, v103, v12
	v_sub_f32_e32 v103, v81, v86
	v_fmac_f32_e32 v16, 0x3e9e377a, v69
	v_fmamk_f32 v69, v102, 0x3f737871, v63
	v_fmac_f32_e32 v63, 0xbf737871, v102
	v_sub_f32_e32 v100, v35, v37
	v_fmac_f32_e32 v70, 0x3e9e377a, v36
	v_fmac_f32_e32 v64, 0x3e9e377a, v36
	v_add_f32_e32 v11, v11, v37
	v_mad_u64_u32 v[36:37], null, s3, v55, v[2:3]
	v_mad_u64_u32 v[42:43], null, s2, v44, 0
	v_mov_b32_e32 v2, v41
	v_fmac_f32_e32 v69, 0x3f167918, v103
	v_fmac_f32_e32 v63, 0xbf167918, v103
	v_fmamk_f32 v59, v104, 0xbf737871, v50
	v_fmac_f32_e32 v50, 0x3f737871, v104
	v_add_f32_e32 v37, v35, v11
	v_mov_b32_e32 v34, v36
	v_mad_u64_u32 v[35:36], null, s3, v49, v[2:3]
	v_sub_f32_e32 v110, v81, v79
	v_add_f32_e32 v79, v79, v85
	v_fmac_f32_e32 v69, 0x3e9e377a, v47
	v_fmac_f32_e32 v63, 0x3e9e377a, v47
	v_add_co_u32 v47, vcc_lo, s12, v8
	v_add_f32_e32 v7, v97, v100
	v_fmac_f32_e32 v59, 0xbf167918, v105
	v_fmac_f32_e32 v50, 0x3f167918, v105
	v_mov_b32_e32 v2, v43
	v_add_co_ci_u32_e32 v49, vcc_lo, s13, v9, vcc_lo
	v_add_nc_u32_e32 v9, 0x249, v55
	v_fmamk_f32 v23, v76, 0x3f737871, v19
	v_fmac_f32_e32 v19, 0xbf737871, v76
	v_fmac_f32_e32 v10, -0.5, v95
	v_fmac_f32_e32 v26, -0.5, v79
	v_fmac_f32_e32 v59, 0x3e9e377a, v7
	v_fmac_f32_e32 v50, 0x3e9e377a, v7
	v_lshlrev_b64 v[7:8], 3, v[33:34]
	v_mad_u64_u32 v[33:34], null, s3, v44, v[2:3]
	v_mov_b32_e32 v41, v35
	v_mad_u64_u32 v[34:35], null, s2, v9, 0
	v_fmamk_f32 v12, v71, 0xbf737871, v21
	v_fmac_f32_e32 v21, 0x3f737871, v71
	v_fmac_f32_e32 v23, 0xbf167918, v71
	;; [unrolled: 1-line block ×3, first 2 shown]
	v_fmamk_f32 v71, v103, 0x3f737871, v10
	v_fmac_f32_e32 v10, 0xbf737871, v103
	v_sub_f32_e32 v111, v86, v85
	v_fmamk_f32 v72, v96, 0xbf737871, v26
	v_fmac_f32_e32 v26, 0x3f737871, v96
	v_fmac_f32_e32 v5, 0x3e9e377a, v75
	;; [unrolled: 1-line block ×3, first 2 shown]
	v_add_f32_e32 v75, v112, v113
	v_fmac_f32_e32 v71, 0xbf167918, v102
	v_fmac_f32_e32 v10, 0x3f167918, v102
	v_add_nc_u32_e32 v11, 0x30c, v55
	v_add_f32_e32 v61, v110, v111
	v_fmac_f32_e32 v72, 0x3f167918, v87
	v_fmac_f32_e32 v26, 0xbf167918, v87
	v_mov_b32_e32 v43, v33
	v_mov_b32_e32 v2, v35
	v_fmamk_f32 v60, v94, 0x3f737871, v51
	v_fmac_f32_e32 v12, 0xbf167918, v76
	v_fmac_f32_e32 v21, 0x3f167918, v76
	v_fmac_f32_e32 v71, 0x3e9e377a, v75
	v_fmac_f32_e32 v10, 0x3e9e377a, v75
	v_fmac_f32_e32 v51, 0xbf737871, v94
	v_add_f32_e32 v38, v39, v25
	v_lshlrev_b64 v[39:40], 3, v[40:41]
	v_mad_u64_u32 v[75:76], null, s2, v11, 0
	v_fmac_f32_e32 v72, 0x3e9e377a, v61
	v_fmac_f32_e32 v26, 0x3e9e377a, v61
	v_fmamk_f32 v61, v105, 0x3f737871, v57
	v_fmac_f32_e32 v57, 0xbf737871, v105
	v_lshlrev_b64 v[35:36], 3, v[42:43]
	v_mad_u64_u32 v[41:42], null, s3, v9, v[2:3]
	v_fmac_f32_e32 v24, 0x3e9e377a, v77
	v_fmac_f32_e32 v20, 0x3e9e377a, v77
	v_add_co_u32 v7, vcc_lo, v47, v7
	v_mad_u64_u32 v[77:78], null, s2, v52, 0
	v_fmac_f32_e32 v51, 0xbf167918, v93
	v_add_co_ci_u32_e32 v8, vcc_lo, v49, v8, vcc_lo
	v_fmac_f32_e32 v57, 0x3f167918, v104
	v_add_co_u32 v39, vcc_lo, v47, v39
	v_add_co_ci_u32_e32 v40, vcc_lo, v49, v40, vcc_lo
	v_mov_b32_e32 v2, v76
	v_add_co_u32 v42, vcc_lo, v47, v35
	v_mov_b32_e32 v35, v41
	v_fmac_f32_e32 v51, 0x3e9e377a, v91
	v_fmac_f32_e32 v57, 0x3e9e377a, v18
	v_mov_b32_e32 v9, v78
	v_add_co_ci_u32_e32 v43, vcc_lo, v49, v36, vcc_lo
	v_mad_u64_u32 v[78:79], null, s3, v11, v[2:3]
	global_store_dwordx2 v[7:8], v[37:38], off
	global_store_dwordx2 v[39:40], v[50:51], off
	global_store_dwordx2 v[42:43], v[57:58], off
	v_lshlrev_b64 v[7:8], 3, v[34:35]
	v_mad_u64_u32 v[33:34], null, s2, v48, 0
	v_fmac_f32_e32 v23, 0x3e9e377a, v80
	v_fmac_f32_e32 v19, 0x3e9e377a, v80
	v_mad_u64_u32 v[79:80], null, s3, v52, v[9:10]
	v_add_nc_u32_e32 v9, 0x1ad, v55
	v_mov_b32_e32 v76, v78
	v_mov_b32_e32 v2, v34
	v_add_co_u32 v7, vcc_lo, v47, v7
	v_mad_u64_u32 v[39:40], null, s2, v9, 0
	v_mov_b32_e32 v78, v79
	v_lshlrev_b64 v[35:36], 3, v[75:76]
	v_mad_u64_u32 v[41:42], null, s3, v48, v[2:3]
	v_fmac_f32_e32 v61, 0xbf167918, v104
	v_lshlrev_b64 v[37:38], 3, v[77:78]
	v_mul_hi_u32 v11, 0x50150151, v56
	v_fmac_f32_e32 v60, 0x3f167918, v93
	v_add_co_ci_u32_e32 v8, vcc_lo, v49, v8, vcc_lo
	v_add_co_u32 v35, vcc_lo, v47, v35
	v_mov_b32_e32 v2, v40
	v_add_co_ci_u32_e32 v36, vcc_lo, v49, v36, vcc_lo
	v_fmac_f32_e32 v61, 0x3e9e377a, v18
	v_add_co_u32 v37, vcc_lo, v47, v37
	v_mov_b32_e32 v34, v41
	v_add_nc_u32_e32 v18, 0x270, v55
	v_fmac_f32_e32 v60, 0x3e9e377a, v91
	v_add_co_ci_u32_e32 v38, vcc_lo, v49, v38, vcc_lo
	v_mad_u64_u32 v[42:43], null, s3, v9, v[2:3]
	v_sub_nc_u32_e32 v2, v56, v11
	global_store_dwordx2 v[7:8], v[61:62], off
	global_store_dwordx2 v[35:36], v[59:60], off
	global_store_dwordx2 v[37:38], v[73:74], off
	v_lshlrev_b64 v[7:8], 3, v[33:34]
	v_mad_u64_u32 v[33:34], null, s2, v18, 0
	v_lshrrev_b32_e32 v41, 1, v2
	v_add_nc_u32_e32 v25, 0x333, v55
	v_mov_b32_e32 v40, v42
	v_add_co_u32 v7, vcc_lo, v47, v7
	v_add_nc_u32_e32 v11, v41, v11
	v_mov_b32_e32 v2, v34
	v_mad_u64_u32 v[35:36], null, s2, v25, 0
	v_lshlrev_b64 v[37:38], 3, v[39:40]
	v_add_co_ci_u32_e32 v8, vcc_lo, v49, v8, vcc_lo
	v_mad_u64_u32 v[39:40], null, s3, v18, v[2:3]
	v_lshrrev_b32_e32 v2, 7, v11
	v_mov_b32_e32 v9, v36
	v_mov_b32_e32 v11, v26
	v_add_co_u32 v37, vcc_lo, v47, v37
	v_mad_u32_u24 v18, 0x30c, v2, v56
	v_mad_u64_u32 v[40:41], null, s3, v25, v[9:10]
	v_mov_b32_e32 v34, v39
	global_store_dwordx2 v[7:8], v[69:70], off
	v_mad_u64_u32 v[25:26], null, s2, v18, 0
	v_add_nc_u32_e32 v39, 0xc3, v18
	v_lshlrev_b64 v[7:8], 3, v[33:34]
	v_add_co_ci_u32_e32 v38, vcc_lo, v49, v38, vcc_lo
	v_mov_b32_e32 v36, v40
	v_mad_u64_u32 v[33:34], null, s2, v39, 0
	v_mov_b32_e32 v2, v26
	global_store_dwordx2 v[37:38], v[10:11], off
	v_lshlrev_b64 v[9:10], 3, v[35:36]
	v_add_co_u32 v7, vcc_lo, v47, v7
	v_mad_u64_u32 v[35:36], null, s3, v18, v[2:3]
	v_mov_b32_e32 v2, v34
	v_add_co_ci_u32_e32 v8, vcc_lo, v49, v8, vcc_lo
	v_add_co_u32 v9, vcc_lo, v47, v9
	v_mad_u64_u32 v[36:37], null, s3, v39, v[2:3]
	v_mov_b32_e32 v26, v35
	v_add_nc_u32_e32 v35, 0x186, v18
	v_mul_hi_u32 v37, 0x50150151, v54
	v_add_co_ci_u32_e32 v10, vcc_lo, v49, v10, vcc_lo
	global_store_dwordx2 v[7:8], v[71:72], off
	global_store_dwordx2 v[9:10], v[63:64], off
	v_add_nc_u32_e32 v38, 0x249, v18
	v_mad_u64_u32 v[9:10], null, s2, v35, 0
	v_mov_b32_e32 v34, v36
	v_sub_nc_u32_e32 v36, v54, v37
	v_lshlrev_b64 v[7:8], 3, v[25:26]
	v_mad_u64_u32 v[25:26], null, s2, v38, 0
	v_add_nc_u32_e32 v18, 0x30c, v18
	v_mov_b32_e32 v2, v10
	v_lshrrev_b32_e32 v36, 1, v36
	v_lshlrev_b64 v[10:11], 3, v[33:34]
	v_add_co_u32 v7, vcc_lo, v47, v7
	v_mad_u64_u32 v[33:34], null, s3, v35, v[2:3]
	v_mov_b32_e32 v2, v26
	v_add_nc_u32_e32 v26, v36, v37
	v_mad_u64_u32 v[34:35], null, s2, v18, 0
	v_add_co_ci_u32_e32 v8, vcc_lo, v49, v8, vcc_lo
	v_add_co_u32 v36, vcc_lo, v47, v10
	v_add_co_ci_u32_e32 v37, vcc_lo, v49, v11, vcc_lo
	v_lshrrev_b32_e32 v11, 7, v26
	v_mad_u64_u32 v[38:39], null, s3, v38, v[2:3]
	v_mov_b32_e32 v10, v33
	v_mov_b32_e32 v2, v35
	global_store_dwordx2 v[7:8], v[45:46], off
	global_store_dwordx2 v[36:37], v[31:32], off
	v_mad_u32_u24 v37, 0x30c, v11, v54
	v_fmamk_f32 v67, v98, 0x3f737871, v29
	v_lshlrev_b64 v[7:8], 3, v[9:10]
	v_mad_u64_u32 v[9:10], null, s3, v18, v[2:3]
	v_mad_u64_u32 v[10:11], null, s2, v37, 0
	v_mov_b32_e32 v26, v38
	v_add_nc_u32_e32 v18, 0xc3, v37
	v_fmac_f32_e32 v29, 0xbf737871, v98
	v_fmac_f32_e32 v67, 0xbf167918, v90
	v_mov_b32_e32 v35, v9
	v_lshlrev_b64 v[25:26], 3, v[25:26]
	v_mov_b32_e32 v2, v11
	v_mad_u64_u32 v[31:32], null, s2, v18, 0
	v_fmac_f32_e32 v29, 0x3f167918, v90
	v_add_co_u32 v7, vcc_lo, v47, v7
	v_add_co_ci_u32_e32 v8, vcc_lo, v49, v8, vcc_lo
	v_add_co_u32 v25, vcc_lo, v47, v25
	v_lshlrev_b64 v[33:34], 3, v[34:35]
	v_mad_u64_u32 v[35:36], null, s3, v37, v[2:3]
	v_fmac_f32_e32 v30, 0x3e9e377a, v99
	v_fmac_f32_e32 v29, 0x3e9e377a, v92
	v_fmac_f32_e32 v68, 0x3e9e377a, v99
	v_fmac_f32_e32 v67, 0x3e9e377a, v92
	v_add_co_ci_u32_e32 v26, vcc_lo, v49, v26, vcc_lo
	v_mov_b32_e32 v2, v32
	global_store_dwordx2 v[7:8], v[29:30], off
	global_store_dwordx2 v[25:26], v[67:68], off
	v_add_co_u32 v7, vcc_lo, v47, v33
	v_add_co_ci_u32_e32 v8, vcc_lo, v49, v34, vcc_lo
	v_mov_b32_e32 v11, v35
	v_mad_u64_u32 v[25:26], null, s3, v18, v[2:3]
	v_add_nc_u32_e32 v18, 0x186, v37
	v_add_nc_u32_e32 v33, 0x249, v37
	global_store_dwordx2 v[7:8], v[65:66], off
	v_lshlrev_b64 v[7:8], 3, v[10:11]
	v_mul_hi_u32 v11, 0x50150151, v53
	v_mad_u64_u32 v[9:10], null, s2, v18, 0
	v_mad_u64_u32 v[29:30], null, s2, v33, 0
	v_mov_b32_e32 v32, v25
	v_add_nc_u32_e32 v34, 0x30c, v37
	v_add_co_u32 v7, vcc_lo, v47, v7
	v_mov_b32_e32 v2, v10
	v_add_co_ci_u32_e32 v8, vcc_lo, v49, v8, vcc_lo
	v_mov_b32_e32 v10, v30
	v_lshlrev_b64 v[25:26], 3, v[31:32]
	v_mad_u64_u32 v[30:31], null, s3, v18, v[2:3]
	v_sub_nc_u32_e32 v2, v53, v11
	v_mad_u64_u32 v[31:32], null, s3, v33, v[10:11]
	v_mad_u64_u32 v[32:33], null, s2, v34, 0
	global_store_dwordx2 v[7:8], v[27:28], off
	v_lshrrev_b32_e32 v7, 1, v2
	v_add_co_u32 v25, vcc_lo, v47, v25
	v_fmac_f32_e32 v21, 0x3e9e377a, v84
	v_add_co_ci_u32_e32 v26, vcc_lo, v49, v26, vcc_lo
	v_mov_b32_e32 v2, v33
	v_add_nc_u32_e32 v11, v7, v11
	v_mov_b32_e32 v10, v30
	global_store_dwordx2 v[25:26], v[21:22], off
	v_mov_b32_e32 v30, v31
	v_mad_u64_u32 v[21:22], null, s3, v34, v[2:3]
	v_lshrrev_b32_e32 v2, 7, v11
	v_lshlrev_b64 v[7:8], 3, v[9:10]
	v_lshlrev_b64 v[9:10], 3, v[29:30]
	v_fmac_f32_e32 v12, 0x3e9e377a, v84
	v_fmac_f32_e32 v17, 0x3e9e377a, v89
	v_mad_u32_u24 v25, 0x30c, v2, v53
	v_mov_b32_e32 v33, v21
	v_add_co_u32 v7, vcc_lo, v47, v7
	v_add_co_ci_u32_e32 v8, vcc_lo, v49, v8, vcc_lo
	v_mad_u64_u32 v[21:22], null, s2, v25, 0
	v_add_co_u32 v9, vcc_lo, v47, v9
	global_store_dwordx2 v[7:8], v[19:20], off
	v_add_nc_u32_e32 v20, 0x186, v25
	v_add_co_ci_u32_e32 v10, vcc_lo, v49, v10, vcc_lo
	v_mov_b32_e32 v2, v22
	v_add_nc_u32_e32 v27, 0x249, v25
	v_mad_u64_u32 v[18:19], null, s2, v20, 0
	v_add_nc_u32_e32 v11, 0xc3, v25
	global_store_dwordx2 v[9:10], v[23:24], off
	v_mad_u64_u32 v[22:23], null, s3, v25, v[2:3]
	v_lshlrev_b64 v[7:8], 3, v[32:33]
	v_mad_u64_u32 v[23:24], null, s2, v27, 0
	v_add_nc_u32_e32 v28, 0x30c, v25
	v_mov_b32_e32 v2, v19
	v_mad_u64_u32 v[9:10], null, s2, v11, 0
	v_add_co_u32 v7, vcc_lo, v47, v7
	v_mad_u64_u32 v[25:26], null, s2, v28, 0
	v_add_co_ci_u32_e32 v8, vcc_lo, v49, v8, vcc_lo
	v_mad_u64_u32 v[19:20], null, s3, v20, v[2:3]
	v_mov_b32_e32 v2, v24
	v_mad_u64_u32 v[10:11], null, s3, v11, v[10:11]
	global_store_dwordx2 v[7:8], v[12:13], off
	v_lshlrev_b64 v[7:8], 3, v[21:22]
	v_mad_u64_u32 v[11:12], null, s3, v27, v[2:3]
	v_mov_b32_e32 v2, v26
	v_lshlrev_b64 v[18:19], 3, v[18:19]
	v_lshlrev_b64 v[9:10], 3, v[9:10]
	v_add_co_u32 v7, vcc_lo, v47, v7
	v_mad_u64_u32 v[12:13], null, s3, v28, v[2:3]
	v_mov_b32_e32 v24, v11
	v_add_co_ci_u32_e32 v8, vcc_lo, v49, v8, vcc_lo
	v_add_co_u32 v9, vcc_lo, v47, v9
	v_add_co_ci_u32_e32 v10, vcc_lo, v49, v10, vcc_lo
	v_mov_b32_e32 v26, v12
	v_lshlrev_b64 v[20:21], 3, v[23:24]
	v_add_co_u32 v11, vcc_lo, v47, v18
	v_add_co_ci_u32_e32 v12, vcc_lo, v49, v19, vcc_lo
	v_lshlrev_b64 v[18:19], 3, v[25:26]
	v_add_co_u32 v20, vcc_lo, v47, v20
	v_add_co_ci_u32_e32 v21, vcc_lo, v49, v21, vcc_lo
	v_fmac_f32_e32 v4, 0x3e9e377a, v89
	v_add_co_u32 v18, vcc_lo, v47, v18
	v_add_co_ci_u32_e32 v19, vcc_lo, v49, v19, vcc_lo
	global_store_dwordx2 v[7:8], v[0:1], off
	global_store_dwordx2 v[9:10], v[16:17], off
	;; [unrolled: 1-line block ×5, first 2 shown]
.LBB0_26:
	s_endpgm
	.section	.rodata,"a",@progbits
	.p2align	6, 0x0
	.amdhsa_kernel fft_rtc_fwd_len975_factors_13_5_3_5_wgs_117_tpt_39_halfLds_sp_ip_CI_sbrr_dirReg
		.amdhsa_group_segment_fixed_size 0
		.amdhsa_private_segment_fixed_size 0
		.amdhsa_kernarg_size 88
		.amdhsa_user_sgpr_count 6
		.amdhsa_user_sgpr_private_segment_buffer 1
		.amdhsa_user_sgpr_dispatch_ptr 0
		.amdhsa_user_sgpr_queue_ptr 0
		.amdhsa_user_sgpr_kernarg_segment_ptr 1
		.amdhsa_user_sgpr_dispatch_id 0
		.amdhsa_user_sgpr_flat_scratch_init 0
		.amdhsa_user_sgpr_private_segment_size 0
		.amdhsa_wavefront_size32 1
		.amdhsa_uses_dynamic_stack 0
		.amdhsa_system_sgpr_private_segment_wavefront_offset 0
		.amdhsa_system_sgpr_workgroup_id_x 1
		.amdhsa_system_sgpr_workgroup_id_y 0
		.amdhsa_system_sgpr_workgroup_id_z 0
		.amdhsa_system_sgpr_workgroup_info 0
		.amdhsa_system_vgpr_workitem_id 0
		.amdhsa_next_free_vgpr 124
		.amdhsa_next_free_sgpr 23
		.amdhsa_reserve_vcc 1
		.amdhsa_reserve_flat_scratch 0
		.amdhsa_float_round_mode_32 0
		.amdhsa_float_round_mode_16_64 0
		.amdhsa_float_denorm_mode_32 3
		.amdhsa_float_denorm_mode_16_64 3
		.amdhsa_dx10_clamp 1
		.amdhsa_ieee_mode 1
		.amdhsa_fp16_overflow 0
		.amdhsa_workgroup_processor_mode 1
		.amdhsa_memory_ordered 1
		.amdhsa_forward_progress 0
		.amdhsa_shared_vgpr_count 0
		.amdhsa_exception_fp_ieee_invalid_op 0
		.amdhsa_exception_fp_denorm_src 0
		.amdhsa_exception_fp_ieee_div_zero 0
		.amdhsa_exception_fp_ieee_overflow 0
		.amdhsa_exception_fp_ieee_underflow 0
		.amdhsa_exception_fp_ieee_inexact 0
		.amdhsa_exception_int_div_zero 0
	.end_amdhsa_kernel
	.text
.Lfunc_end0:
	.size	fft_rtc_fwd_len975_factors_13_5_3_5_wgs_117_tpt_39_halfLds_sp_ip_CI_sbrr_dirReg, .Lfunc_end0-fft_rtc_fwd_len975_factors_13_5_3_5_wgs_117_tpt_39_halfLds_sp_ip_CI_sbrr_dirReg
                                        ; -- End function
	.section	.AMDGPU.csdata,"",@progbits
; Kernel info:
; codeLenInByte = 18732
; NumSgprs: 25
; NumVgprs: 124
; ScratchSize: 0
; MemoryBound: 0
; FloatMode: 240
; IeeeMode: 1
; LDSByteSize: 0 bytes/workgroup (compile time only)
; SGPRBlocks: 3
; VGPRBlocks: 15
; NumSGPRsForWavesPerEU: 25
; NumVGPRsForWavesPerEU: 124
; Occupancy: 8
; WaveLimiterHint : 1
; COMPUTE_PGM_RSRC2:SCRATCH_EN: 0
; COMPUTE_PGM_RSRC2:USER_SGPR: 6
; COMPUTE_PGM_RSRC2:TRAP_HANDLER: 0
; COMPUTE_PGM_RSRC2:TGID_X_EN: 1
; COMPUTE_PGM_RSRC2:TGID_Y_EN: 0
; COMPUTE_PGM_RSRC2:TGID_Z_EN: 0
; COMPUTE_PGM_RSRC2:TIDIG_COMP_CNT: 0
	.text
	.p2alignl 6, 3214868480
	.fill 48, 4, 3214868480
	.type	__hip_cuid_46e2fb00cbceafdf,@object ; @__hip_cuid_46e2fb00cbceafdf
	.section	.bss,"aw",@nobits
	.globl	__hip_cuid_46e2fb00cbceafdf
__hip_cuid_46e2fb00cbceafdf:
	.byte	0                               ; 0x0
	.size	__hip_cuid_46e2fb00cbceafdf, 1

	.ident	"AMD clang version 19.0.0git (https://github.com/RadeonOpenCompute/llvm-project roc-6.4.0 25133 c7fe45cf4b819c5991fe208aaa96edf142730f1d)"
	.section	".note.GNU-stack","",@progbits
	.addrsig
	.addrsig_sym __hip_cuid_46e2fb00cbceafdf
	.amdgpu_metadata
---
amdhsa.kernels:
  - .args:
      - .actual_access:  read_only
        .address_space:  global
        .offset:         0
        .size:           8
        .value_kind:     global_buffer
      - .offset:         8
        .size:           8
        .value_kind:     by_value
      - .actual_access:  read_only
        .address_space:  global
        .offset:         16
        .size:           8
        .value_kind:     global_buffer
      - .actual_access:  read_only
        .address_space:  global
        .offset:         24
        .size:           8
        .value_kind:     global_buffer
      - .offset:         32
        .size:           8
        .value_kind:     by_value
      - .actual_access:  read_only
        .address_space:  global
        .offset:         40
        .size:           8
        .value_kind:     global_buffer
      - .actual_access:  read_only
        .address_space:  global
        .offset:         48
        .size:           8
        .value_kind:     global_buffer
      - .offset:         56
        .size:           4
        .value_kind:     by_value
      - .actual_access:  read_only
        .address_space:  global
        .offset:         64
        .size:           8
        .value_kind:     global_buffer
      - .actual_access:  read_only
        .address_space:  global
        .offset:         72
        .size:           8
        .value_kind:     global_buffer
      - .address_space:  global
        .offset:         80
        .size:           8
        .value_kind:     global_buffer
    .group_segment_fixed_size: 0
    .kernarg_segment_align: 8
    .kernarg_segment_size: 88
    .language:       OpenCL C
    .language_version:
      - 2
      - 0
    .max_flat_workgroup_size: 117
    .name:           fft_rtc_fwd_len975_factors_13_5_3_5_wgs_117_tpt_39_halfLds_sp_ip_CI_sbrr_dirReg
    .private_segment_fixed_size: 0
    .sgpr_count:     25
    .sgpr_spill_count: 0
    .symbol:         fft_rtc_fwd_len975_factors_13_5_3_5_wgs_117_tpt_39_halfLds_sp_ip_CI_sbrr_dirReg.kd
    .uniform_work_group_size: 1
    .uses_dynamic_stack: false
    .vgpr_count:     124
    .vgpr_spill_count: 0
    .wavefront_size: 32
    .workgroup_processor_mode: 1
amdhsa.target:   amdgcn-amd-amdhsa--gfx1030
amdhsa.version:
  - 1
  - 2
...

	.end_amdgpu_metadata
